;; amdgpu-corpus repo=ROCm/rocSPARSE kind=compiled arch=gfx906 opt=O3
	.amdgcn_target "amdgcn-amd-amdhsa--gfx906"
	.amdhsa_code_object_version 6
	.section	.text._ZN9rocsparseL22gebsrmvn_mxn_16_kernelILj63ELj9ELj1EfEEvi20rocsparse_direction_NS_24const_host_device_scalarIT2_EEPKiS6_PKS3_iiS8_S4_PS3_21rocsparse_index_base_b,"axG",@progbits,_ZN9rocsparseL22gebsrmvn_mxn_16_kernelILj63ELj9ELj1EfEEvi20rocsparse_direction_NS_24const_host_device_scalarIT2_EEPKiS6_PKS3_iiS8_S4_PS3_21rocsparse_index_base_b,comdat
	.globl	_ZN9rocsparseL22gebsrmvn_mxn_16_kernelILj63ELj9ELj1EfEEvi20rocsparse_direction_NS_24const_host_device_scalarIT2_EEPKiS6_PKS3_iiS8_S4_PS3_21rocsparse_index_base_b ; -- Begin function _ZN9rocsparseL22gebsrmvn_mxn_16_kernelILj63ELj9ELj1EfEEvi20rocsparse_direction_NS_24const_host_device_scalarIT2_EEPKiS6_PKS3_iiS8_S4_PS3_21rocsparse_index_base_b
	.p2align	8
	.type	_ZN9rocsparseL22gebsrmvn_mxn_16_kernelILj63ELj9ELj1EfEEvi20rocsparse_direction_NS_24const_host_device_scalarIT2_EEPKiS6_PKS3_iiS8_S4_PS3_21rocsparse_index_base_b,@function
_ZN9rocsparseL22gebsrmvn_mxn_16_kernelILj63ELj9ELj1EfEEvi20rocsparse_direction_NS_24const_host_device_scalarIT2_EEPKiS6_PKS3_iiS8_S4_PS3_21rocsparse_index_base_b: ; @_ZN9rocsparseL22gebsrmvn_mxn_16_kernelILj63ELj9ELj1EfEEvi20rocsparse_direction_NS_24const_host_device_scalarIT2_EEPKiS6_PKS3_iiS8_S4_PS3_21rocsparse_index_base_b
; %bb.0:
	s_load_dwordx2 s[14:15], s[4:5], 0x48
	s_load_dwordx2 s[10:11], s[4:5], 0x8
	;; [unrolled: 1-line block ×3, first 2 shown]
	s_waitcnt lgkmcnt(0)
	s_bitcmp1_b32 s15, 0
	s_cselect_b64 s[2:3], -1, 0
	s_xor_b64 s[0:1], s[2:3], -1
	s_and_b64 vcc, exec, s[2:3]
	s_cbranch_vccnz .LBB0_2
; %bb.1:
	s_load_dword s10, s[10:11], 0x0
.LBB0_2:
	s_andn2_b64 vcc, exec, s[0:1]
	s_cbranch_vccnz .LBB0_4
; %bb.3:
	s_load_dword s8, s[8:9], 0x0
.LBB0_4:
	s_waitcnt lgkmcnt(0)
	v_cmp_eq_f32_e64 s[0:1], s10, 0
	v_cmp_eq_f32_e64 s[2:3], s8, 1.0
	s_and_b64 s[0:1], s[0:1], s[2:3]
	s_and_b64 vcc, exec, s[0:1]
	s_cbranch_vccnz .LBB0_22
; %bb.5:
	s_load_dwordx2 s[0:1], s[4:5], 0x10
	s_ashr_i32 s7, s6, 31
	s_lshl_b64 s[2:3], s[6:7], 2
	s_waitcnt lgkmcnt(0)
	s_add_u32 s0, s0, s2
	s_addc_u32 s1, s1, s3
	s_load_dwordx2 s[18:19], s[0:1], 0x0
	s_waitcnt lgkmcnt(0)
	s_cmp_lt_i32 s18, s19
	s_cbranch_scc1 .LBB0_7
; %bb.6:
	s_load_dwordx2 s[12:13], s[4:5], 0x40
	v_mov_b32_e32 v5, 0
	s_cbranch_execz .LBB0_8
	s_branch .LBB0_12
.LBB0_7:
	s_load_dwordx2 s[12:13], s[4:5], 0x40
	v_mov_b32_e32 v5, 0
.LBB0_8:
	s_load_dwordx4 s[0:3], s[4:5], 0x18
	s_load_dwordx2 s[16:17], s[4:5], 0x30
	v_mad_u64_u32 v[1:2], s[4:5], s18, 9, v[0:1]
	s_mul_i32 s4, s14, 9
	v_mov_b32_e32 v2, 0
	s_sub_i32 s7, s19, s14
	s_sub_i32 s9, s18, s14
	v_mul_u32_u24_e32 v6, 0x1c72, v0
	v_subrev_u32_e32 v1, s4, v1
	v_mov_b32_e32 v5, v2
	s_branch .LBB0_10
.LBB0_9:                                ;   in Loop: Header=BB0_10 Depth=1
	s_or_b64 exec, exec, s[4:5]
	s_add_i32 s9, s9, 7
	s_cmp_ge_i32 s9, s7
	v_add_u32_e32 v1, 63, v1
	s_cbranch_scc1 .LBB0_12
.LBB0_10:                               ; =>This Inner Loop Header: Depth=1
	v_add_u32_sdwa v3, v6, s9 dst_sel:DWORD dst_unused:UNUSED_PAD src0_sel:WORD_1 src1_sel:DWORD
	v_cmp_gt_i32_e32 vcc, s7, v3
	s_and_saveexec_b64 s[4:5], vcc
	s_cbranch_execz .LBB0_9
; %bb.11:                               ;   in Loop: Header=BB0_10 Depth=1
	v_ashrrev_i32_e32 v4, 31, v3
	v_lshlrev_b64 v[3:4], 2, v[3:4]
	s_waitcnt lgkmcnt(0)
	v_mov_b32_e32 v7, s1
	v_add_co_u32_e32 v3, vcc, s0, v3
	v_addc_co_u32_e32 v4, vcc, v7, v4, vcc
	global_load_dword v7, v[3:4], off
	v_lshlrev_b64 v[3:4], 2, v[1:2]
	v_mov_b32_e32 v8, s3
	v_add_co_u32_e32 v3, vcc, s2, v3
	v_addc_co_u32_e32 v4, vcc, v8, v4, vcc
	global_load_dword v8, v[3:4], off
	v_mov_b32_e32 v9, s17
	s_waitcnt vmcnt(1)
	v_subrev_u32_e32 v3, s14, v7
	v_ashrrev_i32_e32 v4, 31, v3
	v_lshlrev_b64 v[3:4], 2, v[3:4]
	v_add_co_u32_e32 v3, vcc, s16, v3
	v_addc_co_u32_e32 v4, vcc, v9, v4, vcc
	global_load_dword v3, v[3:4], off
	s_waitcnt vmcnt(0)
	v_fmac_f32_e32 v5, v8, v3
	s_branch .LBB0_9
.LBB0_12:
	v_lshlrev_b32_e32 v1, 2, v0
	v_cmp_gt_u32_e32 vcc, 27, v0
	ds_write_b32 v1, v5
	s_waitcnt lgkmcnt(0)
	; wave barrier
	s_and_saveexec_b64 s[0:1], vcc
	s_cbranch_execz .LBB0_14
; %bb.13:
	ds_read2_b32 v[2:3], v1 offset1:36
	s_waitcnt lgkmcnt(0)
	v_add_f32_e32 v2, v3, v2
	ds_write_b32 v1, v2
.LBB0_14:
	s_or_b64 exec, exec, s[0:1]
	v_cmp_gt_u32_e32 vcc, 18, v0
	s_waitcnt lgkmcnt(0)
	; wave barrier
	s_and_saveexec_b64 s[0:1], vcc
	s_cbranch_execz .LBB0_16
; %bb.15:
	ds_read2_b32 v[2:3], v1 offset1:18
	s_waitcnt lgkmcnt(0)
	v_add_f32_e32 v2, v3, v2
	ds_write_b32 v1, v2
.LBB0_16:
	s_or_b64 exec, exec, s[0:1]
	v_cmp_gt_u32_e32 vcc, 9, v0
	s_waitcnt lgkmcnt(0)
	; wave barrier
	s_and_saveexec_b64 s[0:1], vcc
	s_cbranch_execz .LBB0_18
; %bb.17:
	ds_read2_b32 v[2:3], v1 offset1:9
	s_waitcnt lgkmcnt(0)
	v_add_f32_e32 v2, v3, v2
	ds_write_b32 v1, v2
.LBB0_18:
	s_or_b64 exec, exec, s[0:1]
	s_waitcnt lgkmcnt(0)
	; wave barrier
	s_and_saveexec_b64 s[0:1], vcc
	s_cbranch_execz .LBB0_22
; %bb.19:
	ds_read_b32 v1, v1
	v_cmp_eq_f32_e64 s[0:1], s8, 0
	s_and_b64 vcc, exec, s[0:1]
	s_waitcnt lgkmcnt(0)
	v_mul_f32_e32 v1, s10, v1
	s_cbranch_vccz .LBB0_23
; %bb.20:
	v_mad_u64_u32 v[2:3], s[0:1], s6, 9, v[0:1]
	v_mov_b32_e32 v3, 0
	v_mov_b32_e32 v4, s13
	v_lshlrev_b64 v[2:3], 2, v[2:3]
	v_add_co_u32_e32 v2, vcc, s12, v2
	v_addc_co_u32_e32 v3, vcc, v4, v3, vcc
	global_store_dword v[2:3], v1, off
	s_cbranch_execnz .LBB0_22
.LBB0_21:
	v_mad_u64_u32 v[2:3], s[0:1], s6, 9, v[0:1]
	v_mov_b32_e32 v3, 0
	v_mov_b32_e32 v0, s13
	v_lshlrev_b64 v[2:3], 2, v[2:3]
	v_add_co_u32_e32 v2, vcc, s12, v2
	v_addc_co_u32_e32 v3, vcc, v0, v3, vcc
	global_load_dword v0, v[2:3], off
	s_waitcnt vmcnt(0)
	v_fmac_f32_e32 v1, s8, v0
	global_store_dword v[2:3], v1, off
.LBB0_22:
	s_endpgm
.LBB0_23:
	s_branch .LBB0_21
	.section	.rodata,"a",@progbits
	.p2align	6, 0x0
	.amdhsa_kernel _ZN9rocsparseL22gebsrmvn_mxn_16_kernelILj63ELj9ELj1EfEEvi20rocsparse_direction_NS_24const_host_device_scalarIT2_EEPKiS6_PKS3_iiS8_S4_PS3_21rocsparse_index_base_b
		.amdhsa_group_segment_fixed_size 252
		.amdhsa_private_segment_fixed_size 0
		.amdhsa_kernarg_size 80
		.amdhsa_user_sgpr_count 6
		.amdhsa_user_sgpr_private_segment_buffer 1
		.amdhsa_user_sgpr_dispatch_ptr 0
		.amdhsa_user_sgpr_queue_ptr 0
		.amdhsa_user_sgpr_kernarg_segment_ptr 1
		.amdhsa_user_sgpr_dispatch_id 0
		.amdhsa_user_sgpr_flat_scratch_init 0
		.amdhsa_user_sgpr_private_segment_size 0
		.amdhsa_uses_dynamic_stack 0
		.amdhsa_system_sgpr_private_segment_wavefront_offset 0
		.amdhsa_system_sgpr_workgroup_id_x 1
		.amdhsa_system_sgpr_workgroup_id_y 0
		.amdhsa_system_sgpr_workgroup_id_z 0
		.amdhsa_system_sgpr_workgroup_info 0
		.amdhsa_system_vgpr_workitem_id 0
		.amdhsa_next_free_vgpr 10
		.amdhsa_next_free_sgpr 20
		.amdhsa_reserve_vcc 1
		.amdhsa_reserve_flat_scratch 0
		.amdhsa_float_round_mode_32 0
		.amdhsa_float_round_mode_16_64 0
		.amdhsa_float_denorm_mode_32 3
		.amdhsa_float_denorm_mode_16_64 3
		.amdhsa_dx10_clamp 1
		.amdhsa_ieee_mode 1
		.amdhsa_fp16_overflow 0
		.amdhsa_exception_fp_ieee_invalid_op 0
		.amdhsa_exception_fp_denorm_src 0
		.amdhsa_exception_fp_ieee_div_zero 0
		.amdhsa_exception_fp_ieee_overflow 0
		.amdhsa_exception_fp_ieee_underflow 0
		.amdhsa_exception_fp_ieee_inexact 0
		.amdhsa_exception_int_div_zero 0
	.end_amdhsa_kernel
	.section	.text._ZN9rocsparseL22gebsrmvn_mxn_16_kernelILj63ELj9ELj1EfEEvi20rocsparse_direction_NS_24const_host_device_scalarIT2_EEPKiS6_PKS3_iiS8_S4_PS3_21rocsparse_index_base_b,"axG",@progbits,_ZN9rocsparseL22gebsrmvn_mxn_16_kernelILj63ELj9ELj1EfEEvi20rocsparse_direction_NS_24const_host_device_scalarIT2_EEPKiS6_PKS3_iiS8_S4_PS3_21rocsparse_index_base_b,comdat
.Lfunc_end0:
	.size	_ZN9rocsparseL22gebsrmvn_mxn_16_kernelILj63ELj9ELj1EfEEvi20rocsparse_direction_NS_24const_host_device_scalarIT2_EEPKiS6_PKS3_iiS8_S4_PS3_21rocsparse_index_base_b, .Lfunc_end0-_ZN9rocsparseL22gebsrmvn_mxn_16_kernelILj63ELj9ELj1EfEEvi20rocsparse_direction_NS_24const_host_device_scalarIT2_EEPKiS6_PKS3_iiS8_S4_PS3_21rocsparse_index_base_b
                                        ; -- End function
	.set _ZN9rocsparseL22gebsrmvn_mxn_16_kernelILj63ELj9ELj1EfEEvi20rocsparse_direction_NS_24const_host_device_scalarIT2_EEPKiS6_PKS3_iiS8_S4_PS3_21rocsparse_index_base_b.num_vgpr, 10
	.set _ZN9rocsparseL22gebsrmvn_mxn_16_kernelILj63ELj9ELj1EfEEvi20rocsparse_direction_NS_24const_host_device_scalarIT2_EEPKiS6_PKS3_iiS8_S4_PS3_21rocsparse_index_base_b.num_agpr, 0
	.set _ZN9rocsparseL22gebsrmvn_mxn_16_kernelILj63ELj9ELj1EfEEvi20rocsparse_direction_NS_24const_host_device_scalarIT2_EEPKiS6_PKS3_iiS8_S4_PS3_21rocsparse_index_base_b.numbered_sgpr, 20
	.set _ZN9rocsparseL22gebsrmvn_mxn_16_kernelILj63ELj9ELj1EfEEvi20rocsparse_direction_NS_24const_host_device_scalarIT2_EEPKiS6_PKS3_iiS8_S4_PS3_21rocsparse_index_base_b.num_named_barrier, 0
	.set _ZN9rocsparseL22gebsrmvn_mxn_16_kernelILj63ELj9ELj1EfEEvi20rocsparse_direction_NS_24const_host_device_scalarIT2_EEPKiS6_PKS3_iiS8_S4_PS3_21rocsparse_index_base_b.private_seg_size, 0
	.set _ZN9rocsparseL22gebsrmvn_mxn_16_kernelILj63ELj9ELj1EfEEvi20rocsparse_direction_NS_24const_host_device_scalarIT2_EEPKiS6_PKS3_iiS8_S4_PS3_21rocsparse_index_base_b.uses_vcc, 1
	.set _ZN9rocsparseL22gebsrmvn_mxn_16_kernelILj63ELj9ELj1EfEEvi20rocsparse_direction_NS_24const_host_device_scalarIT2_EEPKiS6_PKS3_iiS8_S4_PS3_21rocsparse_index_base_b.uses_flat_scratch, 0
	.set _ZN9rocsparseL22gebsrmvn_mxn_16_kernelILj63ELj9ELj1EfEEvi20rocsparse_direction_NS_24const_host_device_scalarIT2_EEPKiS6_PKS3_iiS8_S4_PS3_21rocsparse_index_base_b.has_dyn_sized_stack, 0
	.set _ZN9rocsparseL22gebsrmvn_mxn_16_kernelILj63ELj9ELj1EfEEvi20rocsparse_direction_NS_24const_host_device_scalarIT2_EEPKiS6_PKS3_iiS8_S4_PS3_21rocsparse_index_base_b.has_recursion, 0
	.set _ZN9rocsparseL22gebsrmvn_mxn_16_kernelILj63ELj9ELj1EfEEvi20rocsparse_direction_NS_24const_host_device_scalarIT2_EEPKiS6_PKS3_iiS8_S4_PS3_21rocsparse_index_base_b.has_indirect_call, 0
	.section	.AMDGPU.csdata,"",@progbits
; Kernel info:
; codeLenInByte = 696
; TotalNumSgprs: 24
; NumVgprs: 10
; ScratchSize: 0
; MemoryBound: 0
; FloatMode: 240
; IeeeMode: 1
; LDSByteSize: 252 bytes/workgroup (compile time only)
; SGPRBlocks: 2
; VGPRBlocks: 2
; NumSGPRsForWavesPerEU: 24
; NumVGPRsForWavesPerEU: 10
; Occupancy: 10
; WaveLimiterHint : 1
; COMPUTE_PGM_RSRC2:SCRATCH_EN: 0
; COMPUTE_PGM_RSRC2:USER_SGPR: 6
; COMPUTE_PGM_RSRC2:TRAP_HANDLER: 0
; COMPUTE_PGM_RSRC2:TGID_X_EN: 1
; COMPUTE_PGM_RSRC2:TGID_Y_EN: 0
; COMPUTE_PGM_RSRC2:TGID_Z_EN: 0
; COMPUTE_PGM_RSRC2:TIDIG_COMP_CNT: 0
	.section	.text._ZN9rocsparseL22gebsrmvn_mxn_16_kernelILj54ELj9ELj2EfEEvi20rocsparse_direction_NS_24const_host_device_scalarIT2_EEPKiS6_PKS3_iiS8_S4_PS3_21rocsparse_index_base_b,"axG",@progbits,_ZN9rocsparseL22gebsrmvn_mxn_16_kernelILj54ELj9ELj2EfEEvi20rocsparse_direction_NS_24const_host_device_scalarIT2_EEPKiS6_PKS3_iiS8_S4_PS3_21rocsparse_index_base_b,comdat
	.globl	_ZN9rocsparseL22gebsrmvn_mxn_16_kernelILj54ELj9ELj2EfEEvi20rocsparse_direction_NS_24const_host_device_scalarIT2_EEPKiS6_PKS3_iiS8_S4_PS3_21rocsparse_index_base_b ; -- Begin function _ZN9rocsparseL22gebsrmvn_mxn_16_kernelILj54ELj9ELj2EfEEvi20rocsparse_direction_NS_24const_host_device_scalarIT2_EEPKiS6_PKS3_iiS8_S4_PS3_21rocsparse_index_base_b
	.p2align	8
	.type	_ZN9rocsparseL22gebsrmvn_mxn_16_kernelILj54ELj9ELj2EfEEvi20rocsparse_direction_NS_24const_host_device_scalarIT2_EEPKiS6_PKS3_iiS8_S4_PS3_21rocsparse_index_base_b,@function
_ZN9rocsparseL22gebsrmvn_mxn_16_kernelILj54ELj9ELj2EfEEvi20rocsparse_direction_NS_24const_host_device_scalarIT2_EEPKiS6_PKS3_iiS8_S4_PS3_21rocsparse_index_base_b: ; @_ZN9rocsparseL22gebsrmvn_mxn_16_kernelILj54ELj9ELj2EfEEvi20rocsparse_direction_NS_24const_host_device_scalarIT2_EEPKiS6_PKS3_iiS8_S4_PS3_21rocsparse_index_base_b
; %bb.0:
	s_load_dwordx2 s[14:15], s[4:5], 0x48
	s_load_dwordx2 s[10:11], s[4:5], 0x8
	;; [unrolled: 1-line block ×3, first 2 shown]
	s_waitcnt lgkmcnt(0)
	s_bitcmp1_b32 s15, 0
	s_cselect_b64 s[2:3], -1, 0
	s_xor_b64 s[0:1], s[2:3], -1
	s_and_b64 vcc, exec, s[2:3]
	s_cbranch_vccnz .LBB1_2
; %bb.1:
	s_load_dword s10, s[10:11], 0x0
.LBB1_2:
	s_andn2_b64 vcc, exec, s[0:1]
	s_cbranch_vccnz .LBB1_4
; %bb.3:
	s_load_dword s8, s[8:9], 0x0
.LBB1_4:
	s_waitcnt lgkmcnt(0)
	v_cmp_eq_f32_e64 s[0:1], s10, 0
	v_cmp_eq_f32_e64 s[2:3], s8, 1.0
	s_and_b64 s[0:1], s[0:1], s[2:3]
	s_and_b64 vcc, exec, s[0:1]
	s_cbranch_vccnz .LBB1_32
; %bb.5:
	s_load_dword s2, s[4:5], 0x4
	s_load_dwordx2 s[0:1], s[4:5], 0x10
	v_and_b32_e32 v6, 1, v0
	v_mov_b32_e32 v7, v6
	s_waitcnt lgkmcnt(0)
	s_cmp_lg_u32 s2, 1
	s_cselect_b64 s[16:17], -1, 0
	s_and_b64 vcc, exec, s[16:17]
	s_cbranch_vccnz .LBB1_7
; %bb.6:
	v_mul_u32_u24_e32 v1, 0x1c72, v0
	v_bfe_u32 v7, v1, 16, 1
.LBB1_7:
	s_ashr_i32 s7, s6, 31
	s_lshl_b64 s[2:3], s[6:7], 2
	s_add_u32 s0, s0, s2
	s_addc_u32 s1, s1, s3
	s_load_dwordx2 s[20:21], s[0:1], 0x0
	s_load_dwordx2 s[12:13], s[4:5], 0x40
	v_mov_b32_e32 v5, 0
	s_waitcnt lgkmcnt(0)
	s_cmp_ge_i32 s20, s21
	s_cbranch_scc1 .LBB1_12
; %bb.8:
	s_load_dwordx4 s[0:3], s[4:5], 0x18
	s_load_dwordx2 s[18:19], s[4:5], 0x30
	v_mad_u64_u32 v[1:2], s[4:5], s20, 18, v[0:1]
	s_mul_i32 s4, s14, 18
	v_mov_b32_e32 v2, 0
	s_sub_i32 s7, s21, s14
	s_sub_i32 s9, s20, s14
	v_mul_u32_u24_e32 v8, 0xe39, v0
	v_subrev_u32_e32 v1, s4, v1
	v_mov_b32_e32 v5, v2
	s_branch .LBB1_10
.LBB1_9:                                ;   in Loop: Header=BB1_10 Depth=1
	s_or_b64 exec, exec, s[4:5]
	s_add_i32 s9, s9, 3
	s_cmp_ge_i32 s9, s7
	v_add_u32_e32 v1, 54, v1
	s_cbranch_scc1 .LBB1_12
.LBB1_10:                               ; =>This Inner Loop Header: Depth=1
	v_add_u32_sdwa v3, v8, s9 dst_sel:DWORD dst_unused:UNUSED_PAD src0_sel:WORD_1 src1_sel:DWORD
	v_cmp_gt_i32_e32 vcc, s7, v3
	s_and_saveexec_b64 s[4:5], vcc
	s_cbranch_execz .LBB1_9
; %bb.11:                               ;   in Loop: Header=BB1_10 Depth=1
	v_ashrrev_i32_e32 v4, 31, v3
	v_lshlrev_b64 v[3:4], 2, v[3:4]
	s_waitcnt lgkmcnt(0)
	v_mov_b32_e32 v9, s1
	v_add_co_u32_e32 v3, vcc, s0, v3
	v_addc_co_u32_e32 v4, vcc, v9, v4, vcc
	global_load_dword v9, v[3:4], off
	v_lshlrev_b64 v[3:4], 2, v[1:2]
	v_mov_b32_e32 v10, s3
	v_add_co_u32_e32 v3, vcc, s2, v3
	v_addc_co_u32_e32 v4, vcc, v10, v4, vcc
	global_load_dword v10, v[3:4], off
	v_mov_b32_e32 v11, s19
	s_waitcnt vmcnt(1)
	v_subrev_u32_e32 v3, s14, v9
	v_lshl_or_b32 v3, v3, 1, v7
	v_ashrrev_i32_e32 v4, 31, v3
	v_lshlrev_b64 v[3:4], 2, v[3:4]
	v_add_co_u32_e32 v3, vcc, s18, v3
	v_addc_co_u32_e32 v4, vcc, v11, v4, vcc
	global_load_dword v3, v[3:4], off
	s_waitcnt vmcnt(0)
	v_fmac_f32_e32 v5, v10, v3
	s_branch .LBB1_9
.LBB1_12:
	v_lshlrev_b32_e32 v1, 2, v0
	v_cmp_gt_u32_e32 vcc, 18, v0
	ds_write_b32 v1, v5
	s_waitcnt lgkmcnt(0)
	; wave barrier
	s_and_saveexec_b64 s[0:1], vcc
	s_cbranch_execz .LBB1_14
; %bb.13:
	ds_read2_b32 v[2:3], v1 offset1:36
	s_waitcnt lgkmcnt(0)
	v_add_f32_e32 v2, v3, v2
	ds_write_b32 v1, v2
.LBB1_14:
	s_or_b64 exec, exec, s[0:1]
	s_waitcnt lgkmcnt(0)
	; wave barrier
	s_and_saveexec_b64 s[0:1], vcc
	s_cbranch_execz .LBB1_16
; %bb.15:
	ds_read2_b32 v[2:3], v1 offset1:18
	s_waitcnt lgkmcnt(0)
	v_add_f32_e32 v2, v3, v2
	ds_write_b32 v1, v2
.LBB1_16:
	s_or_b64 exec, exec, s[0:1]
	s_and_b64 vcc, exec, s[16:17]
	s_waitcnt lgkmcnt(0)
	; wave barrier
	s_cbranch_vccz .LBB1_22
; %bb.17:
	v_cmp_eq_u32_e32 vcc, 0, v6
	s_and_saveexec_b64 s[0:1], vcc
	s_cbranch_execz .LBB1_19
; %bb.18:
	ds_read2_b32 v[2:3], v1 offset1:1
	s_waitcnt lgkmcnt(0)
	v_add_f32_e32 v2, v3, v2
	ds_write_b32 v1, v2
.LBB1_19:
	s_or_b64 exec, exec, s[0:1]
	v_cmp_gt_u32_e32 vcc, 9, v0
	v_mov_b32_e32 v2, v5
	s_waitcnt lgkmcnt(0)
	; wave barrier
	s_and_saveexec_b64 s[0:1], vcc
; %bb.20:
	v_lshl_add_u32 v2, v0, 2, v1
	ds_read_b32 v2, v2
; %bb.21:
	s_or_b64 exec, exec, s[0:1]
	s_branch .LBB1_28
.LBB1_22:
                                        ; implicit-def: $vgpr2
	s_cbranch_execz .LBB1_28
; %bb.23:
	v_cmp_lt_u32_e32 vcc, 8, v0
	s_and_saveexec_b64 s[0:1], vcc
	s_xor_b64 s[0:1], exec, s[0:1]
	s_cbranch_execz .LBB1_25
; %bb.24:
	s_waitcnt lgkmcnt(0)
                                        ; implicit-def: $vgpr1
.LBB1_25:
	s_andn2_saveexec_b64 s[0:1], s[0:1]
	s_cbranch_execz .LBB1_27
; %bb.26:
	s_waitcnt lgkmcnt(0)
	ds_read2_b32 v[2:3], v1 offset1:9
	s_waitcnt lgkmcnt(0)
	v_add_f32_e32 v2, v3, v2
	ds_write_b32 v1, v2
	s_waitcnt lgkmcnt(0)
	ds_read_b32 v5, v1
.LBB1_27:
	s_or_b64 exec, exec, s[0:1]
	s_waitcnt lgkmcnt(0)
	v_mov_b32_e32 v2, v5
.LBB1_28:
	v_cmp_gt_u32_e32 vcc, 9, v0
	s_and_saveexec_b64 s[0:1], vcc
	s_cbranch_execz .LBB1_32
; %bb.29:
	v_cmp_eq_f32_e64 s[0:1], s8, 0
	s_and_b64 vcc, exec, s[0:1]
	s_waitcnt lgkmcnt(0)
	v_mul_f32_e32 v1, s10, v2
	s_cbranch_vccz .LBB1_33
; %bb.30:
	v_mad_u64_u32 v[2:3], s[0:1], s6, 9, v[0:1]
	v_mov_b32_e32 v3, 0
	v_mov_b32_e32 v4, s13
	v_lshlrev_b64 v[2:3], 2, v[2:3]
	v_add_co_u32_e32 v2, vcc, s12, v2
	v_addc_co_u32_e32 v3, vcc, v4, v3, vcc
	global_store_dword v[2:3], v1, off
	s_cbranch_execnz .LBB1_32
.LBB1_31:
	v_mad_u64_u32 v[2:3], s[0:1], s6, 9, v[0:1]
	v_mov_b32_e32 v3, 0
	v_mov_b32_e32 v0, s13
	v_lshlrev_b64 v[2:3], 2, v[2:3]
	v_add_co_u32_e32 v2, vcc, s12, v2
	v_addc_co_u32_e32 v3, vcc, v0, v3, vcc
	global_load_dword v0, v[2:3], off
	s_waitcnt vmcnt(0)
	v_fmac_f32_e32 v1, s8, v0
	global_store_dword v[2:3], v1, off
.LBB1_32:
	s_endpgm
.LBB1_33:
	s_branch .LBB1_31
	.section	.rodata,"a",@progbits
	.p2align	6, 0x0
	.amdhsa_kernel _ZN9rocsparseL22gebsrmvn_mxn_16_kernelILj54ELj9ELj2EfEEvi20rocsparse_direction_NS_24const_host_device_scalarIT2_EEPKiS6_PKS3_iiS8_S4_PS3_21rocsparse_index_base_b
		.amdhsa_group_segment_fixed_size 216
		.amdhsa_private_segment_fixed_size 0
		.amdhsa_kernarg_size 80
		.amdhsa_user_sgpr_count 6
		.amdhsa_user_sgpr_private_segment_buffer 1
		.amdhsa_user_sgpr_dispatch_ptr 0
		.amdhsa_user_sgpr_queue_ptr 0
		.amdhsa_user_sgpr_kernarg_segment_ptr 1
		.amdhsa_user_sgpr_dispatch_id 0
		.amdhsa_user_sgpr_flat_scratch_init 0
		.amdhsa_user_sgpr_private_segment_size 0
		.amdhsa_uses_dynamic_stack 0
		.amdhsa_system_sgpr_private_segment_wavefront_offset 0
		.amdhsa_system_sgpr_workgroup_id_x 1
		.amdhsa_system_sgpr_workgroup_id_y 0
		.amdhsa_system_sgpr_workgroup_id_z 0
		.amdhsa_system_sgpr_workgroup_info 0
		.amdhsa_system_vgpr_workitem_id 0
		.amdhsa_next_free_vgpr 12
		.amdhsa_next_free_sgpr 22
		.amdhsa_reserve_vcc 1
		.amdhsa_reserve_flat_scratch 0
		.amdhsa_float_round_mode_32 0
		.amdhsa_float_round_mode_16_64 0
		.amdhsa_float_denorm_mode_32 3
		.amdhsa_float_denorm_mode_16_64 3
		.amdhsa_dx10_clamp 1
		.amdhsa_ieee_mode 1
		.amdhsa_fp16_overflow 0
		.amdhsa_exception_fp_ieee_invalid_op 0
		.amdhsa_exception_fp_denorm_src 0
		.amdhsa_exception_fp_ieee_div_zero 0
		.amdhsa_exception_fp_ieee_overflow 0
		.amdhsa_exception_fp_ieee_underflow 0
		.amdhsa_exception_fp_ieee_inexact 0
		.amdhsa_exception_int_div_zero 0
	.end_amdhsa_kernel
	.section	.text._ZN9rocsparseL22gebsrmvn_mxn_16_kernelILj54ELj9ELj2EfEEvi20rocsparse_direction_NS_24const_host_device_scalarIT2_EEPKiS6_PKS3_iiS8_S4_PS3_21rocsparse_index_base_b,"axG",@progbits,_ZN9rocsparseL22gebsrmvn_mxn_16_kernelILj54ELj9ELj2EfEEvi20rocsparse_direction_NS_24const_host_device_scalarIT2_EEPKiS6_PKS3_iiS8_S4_PS3_21rocsparse_index_base_b,comdat
.Lfunc_end1:
	.size	_ZN9rocsparseL22gebsrmvn_mxn_16_kernelILj54ELj9ELj2EfEEvi20rocsparse_direction_NS_24const_host_device_scalarIT2_EEPKiS6_PKS3_iiS8_S4_PS3_21rocsparse_index_base_b, .Lfunc_end1-_ZN9rocsparseL22gebsrmvn_mxn_16_kernelILj54ELj9ELj2EfEEvi20rocsparse_direction_NS_24const_host_device_scalarIT2_EEPKiS6_PKS3_iiS8_S4_PS3_21rocsparse_index_base_b
                                        ; -- End function
	.set _ZN9rocsparseL22gebsrmvn_mxn_16_kernelILj54ELj9ELj2EfEEvi20rocsparse_direction_NS_24const_host_device_scalarIT2_EEPKiS6_PKS3_iiS8_S4_PS3_21rocsparse_index_base_b.num_vgpr, 12
	.set _ZN9rocsparseL22gebsrmvn_mxn_16_kernelILj54ELj9ELj2EfEEvi20rocsparse_direction_NS_24const_host_device_scalarIT2_EEPKiS6_PKS3_iiS8_S4_PS3_21rocsparse_index_base_b.num_agpr, 0
	.set _ZN9rocsparseL22gebsrmvn_mxn_16_kernelILj54ELj9ELj2EfEEvi20rocsparse_direction_NS_24const_host_device_scalarIT2_EEPKiS6_PKS3_iiS8_S4_PS3_21rocsparse_index_base_b.numbered_sgpr, 22
	.set _ZN9rocsparseL22gebsrmvn_mxn_16_kernelILj54ELj9ELj2EfEEvi20rocsparse_direction_NS_24const_host_device_scalarIT2_EEPKiS6_PKS3_iiS8_S4_PS3_21rocsparse_index_base_b.num_named_barrier, 0
	.set _ZN9rocsparseL22gebsrmvn_mxn_16_kernelILj54ELj9ELj2EfEEvi20rocsparse_direction_NS_24const_host_device_scalarIT2_EEPKiS6_PKS3_iiS8_S4_PS3_21rocsparse_index_base_b.private_seg_size, 0
	.set _ZN9rocsparseL22gebsrmvn_mxn_16_kernelILj54ELj9ELj2EfEEvi20rocsparse_direction_NS_24const_host_device_scalarIT2_EEPKiS6_PKS3_iiS8_S4_PS3_21rocsparse_index_base_b.uses_vcc, 1
	.set _ZN9rocsparseL22gebsrmvn_mxn_16_kernelILj54ELj9ELj2EfEEvi20rocsparse_direction_NS_24const_host_device_scalarIT2_EEPKiS6_PKS3_iiS8_S4_PS3_21rocsparse_index_base_b.uses_flat_scratch, 0
	.set _ZN9rocsparseL22gebsrmvn_mxn_16_kernelILj54ELj9ELj2EfEEvi20rocsparse_direction_NS_24const_host_device_scalarIT2_EEPKiS6_PKS3_iiS8_S4_PS3_21rocsparse_index_base_b.has_dyn_sized_stack, 0
	.set _ZN9rocsparseL22gebsrmvn_mxn_16_kernelILj54ELj9ELj2EfEEvi20rocsparse_direction_NS_24const_host_device_scalarIT2_EEPKiS6_PKS3_iiS8_S4_PS3_21rocsparse_index_base_b.has_recursion, 0
	.set _ZN9rocsparseL22gebsrmvn_mxn_16_kernelILj54ELj9ELj2EfEEvi20rocsparse_direction_NS_24const_host_device_scalarIT2_EEPKiS6_PKS3_iiS8_S4_PS3_21rocsparse_index_base_b.has_indirect_call, 0
	.section	.AMDGPU.csdata,"",@progbits
; Kernel info:
; codeLenInByte = 852
; TotalNumSgprs: 26
; NumVgprs: 12
; ScratchSize: 0
; MemoryBound: 0
; FloatMode: 240
; IeeeMode: 1
; LDSByteSize: 216 bytes/workgroup (compile time only)
; SGPRBlocks: 3
; VGPRBlocks: 2
; NumSGPRsForWavesPerEU: 26
; NumVGPRsForWavesPerEU: 12
; Occupancy: 10
; WaveLimiterHint : 1
; COMPUTE_PGM_RSRC2:SCRATCH_EN: 0
; COMPUTE_PGM_RSRC2:USER_SGPR: 6
; COMPUTE_PGM_RSRC2:TRAP_HANDLER: 0
; COMPUTE_PGM_RSRC2:TGID_X_EN: 1
; COMPUTE_PGM_RSRC2:TGID_Y_EN: 0
; COMPUTE_PGM_RSRC2:TGID_Z_EN: 0
; COMPUTE_PGM_RSRC2:TIDIG_COMP_CNT: 0
	.section	.text._ZN9rocsparseL22gebsrmvn_mxn_16_kernelILj54ELj9ELj3EfEEvi20rocsparse_direction_NS_24const_host_device_scalarIT2_EEPKiS6_PKS3_iiS8_S4_PS3_21rocsparse_index_base_b,"axG",@progbits,_ZN9rocsparseL22gebsrmvn_mxn_16_kernelILj54ELj9ELj3EfEEvi20rocsparse_direction_NS_24const_host_device_scalarIT2_EEPKiS6_PKS3_iiS8_S4_PS3_21rocsparse_index_base_b,comdat
	.globl	_ZN9rocsparseL22gebsrmvn_mxn_16_kernelILj54ELj9ELj3EfEEvi20rocsparse_direction_NS_24const_host_device_scalarIT2_EEPKiS6_PKS3_iiS8_S4_PS3_21rocsparse_index_base_b ; -- Begin function _ZN9rocsparseL22gebsrmvn_mxn_16_kernelILj54ELj9ELj3EfEEvi20rocsparse_direction_NS_24const_host_device_scalarIT2_EEPKiS6_PKS3_iiS8_S4_PS3_21rocsparse_index_base_b
	.p2align	8
	.type	_ZN9rocsparseL22gebsrmvn_mxn_16_kernelILj54ELj9ELj3EfEEvi20rocsparse_direction_NS_24const_host_device_scalarIT2_EEPKiS6_PKS3_iiS8_S4_PS3_21rocsparse_index_base_b,@function
_ZN9rocsparseL22gebsrmvn_mxn_16_kernelILj54ELj9ELj3EfEEvi20rocsparse_direction_NS_24const_host_device_scalarIT2_EEPKiS6_PKS3_iiS8_S4_PS3_21rocsparse_index_base_b: ; @_ZN9rocsparseL22gebsrmvn_mxn_16_kernelILj54ELj9ELj3EfEEvi20rocsparse_direction_NS_24const_host_device_scalarIT2_EEPKiS6_PKS3_iiS8_S4_PS3_21rocsparse_index_base_b
; %bb.0:
	s_load_dwordx2 s[14:15], s[4:5], 0x48
	s_load_dwordx2 s[10:11], s[4:5], 0x8
	;; [unrolled: 1-line block ×3, first 2 shown]
	s_waitcnt lgkmcnt(0)
	s_bitcmp1_b32 s15, 0
	s_cselect_b64 s[2:3], -1, 0
	s_xor_b64 s[0:1], s[2:3], -1
	s_and_b64 vcc, exec, s[2:3]
	s_cbranch_vccnz .LBB2_2
; %bb.1:
	s_load_dword s10, s[10:11], 0x0
.LBB2_2:
	s_andn2_b64 vcc, exec, s[0:1]
	s_cbranch_vccnz .LBB2_4
; %bb.3:
	s_load_dword s8, s[8:9], 0x0
.LBB2_4:
	s_waitcnt lgkmcnt(0)
	v_cmp_eq_f32_e64 s[0:1], s10, 0
	v_cmp_eq_f32_e64 s[2:3], s8, 1.0
	s_and_b64 s[0:1], s[0:1], s[2:3]
	s_and_b64 vcc, exec, s[0:1]
	s_cbranch_vccnz .LBB2_34
; %bb.5:
	s_load_dwordx2 s[0:1], s[4:5], 0x10
	s_load_dword s2, s[4:5], 0x4
	v_mul_u32_u24_e32 v1, 0x5556, v0
	v_mov_b32_e32 v2, 3
	v_mul_lo_u16_sdwa v1, v1, v2 dst_sel:DWORD dst_unused:UNUSED_PAD src0_sel:WORD_1 src1_sel:DWORD
	v_sub_u16_e32 v7, v0, v1
	s_waitcnt lgkmcnt(0)
	s_cmp_lg_u32 s2, 1
	s_cselect_b64 s[16:17], -1, 0
	s_and_b64 vcc, exec, s[16:17]
	v_mov_b32_e32 v1, v7
	s_cbranch_vccnz .LBB2_7
; %bb.6:
	s_movk_i32 s2, 0x1c72
	v_mul_u32_u24_sdwa v1, v0, s2 dst_sel:DWORD dst_unused:UNUSED_PAD src0_sel:WORD_0 src1_sel:DWORD
	s_movk_i32 s2, 0x56
	v_mul_lo_u16_sdwa v3, v1, s2 dst_sel:DWORD dst_unused:UNUSED_PAD src0_sel:WORD_1 src1_sel:DWORD
	v_mul_lo_u16_sdwa v2, v3, v2 dst_sel:DWORD dst_unused:UNUSED_PAD src0_sel:BYTE_1 src1_sel:DWORD
	v_sub_u16_sdwa v1, v1, v2 dst_sel:DWORD dst_unused:UNUSED_PAD src0_sel:WORD_1 src1_sel:DWORD
	v_and_b32_e32 v1, 0xff, v1
.LBB2_7:
	s_ashr_i32 s7, s6, 31
	s_lshl_b64 s[2:3], s[6:7], 2
	s_add_u32 s0, s0, s2
	s_addc_u32 s1, s1, s3
	s_load_dwordx2 s[20:21], s[0:1], 0x0
	s_load_dwordx2 s[12:13], s[4:5], 0x40
	v_mov_b32_e32 v6, 0
	s_waitcnt lgkmcnt(0)
	s_cmp_ge_i32 s20, s21
	s_cbranch_scc1 .LBB2_12
; %bb.8:
	s_load_dwordx4 s[0:3], s[4:5], 0x18
	s_load_dwordx2 s[18:19], s[4:5], 0x30
	v_mad_u64_u32 v[2:3], s[4:5], s20, 27, v[0:1]
	s_movk_i32 s4, 0x97c
	v_mul_u32_u24_sdwa v8, v0, s4 dst_sel:DWORD dst_unused:UNUSED_PAD src0_sel:WORD_0 src1_sel:DWORD
	s_mul_i32 s4, s14, 27
	v_mov_b32_e32 v3, 0
	s_sub_i32 s7, s21, s14
	s_sub_i32 s9, s20, s14
	v_subrev_u32_e32 v2, s4, v2
	v_mov_b32_e32 v6, v3
	s_branch .LBB2_10
.LBB2_9:                                ;   in Loop: Header=BB2_10 Depth=1
	s_or_b64 exec, exec, s[4:5]
	s_add_i32 s9, s9, 2
	s_cmp_ge_i32 s9, s7
	v_add_u32_e32 v2, 54, v2
	s_cbranch_scc1 .LBB2_12
.LBB2_10:                               ; =>This Inner Loop Header: Depth=1
	v_add_u32_sdwa v4, v8, s9 dst_sel:DWORD dst_unused:UNUSED_PAD src0_sel:WORD_1 src1_sel:DWORD
	v_cmp_gt_i32_e32 vcc, s7, v4
	s_and_saveexec_b64 s[4:5], vcc
	s_cbranch_execz .LBB2_9
; %bb.11:                               ;   in Loop: Header=BB2_10 Depth=1
	v_ashrrev_i32_e32 v5, 31, v4
	v_lshlrev_b64 v[4:5], 2, v[4:5]
	s_waitcnt lgkmcnt(0)
	v_mov_b32_e32 v9, s1
	v_add_co_u32_e32 v4, vcc, s0, v4
	v_addc_co_u32_e32 v5, vcc, v9, v5, vcc
	global_load_dword v9, v[4:5], off
	v_lshlrev_b64 v[4:5], 2, v[2:3]
	v_mov_b32_e32 v11, s3
	v_add_co_u32_e32 v4, vcc, s2, v4
	v_addc_co_u32_e32 v5, vcc, v11, v5, vcc
	global_load_dword v11, v[4:5], off
	v_mov_b32_e32 v12, s19
	s_waitcnt vmcnt(1)
	v_subrev_u32_e32 v9, s14, v9
	v_mad_u64_u32 v[9:10], s[20:21], v9, 3, v[1:2]
	v_ashrrev_i32_e32 v10, 31, v9
	v_lshlrev_b64 v[4:5], 2, v[9:10]
	v_add_co_u32_e32 v4, vcc, s18, v4
	v_addc_co_u32_e32 v5, vcc, v12, v5, vcc
	global_load_dword v4, v[4:5], off
	s_waitcnt vmcnt(0)
	v_fmac_f32_e32 v6, v11, v4
	s_branch .LBB2_9
.LBB2_12:
	v_lshlrev_b32_e32 v1, 2, v0
	v_cmp_gt_u32_e32 vcc, 27, v0
	ds_write_b32 v1, v6
	s_waitcnt lgkmcnt(0)
	; wave barrier
	s_and_saveexec_b64 s[0:1], vcc
	s_cbranch_execz .LBB2_14
; %bb.13:
	ds_read2_b32 v[2:3], v1 offset1:27
	s_waitcnt lgkmcnt(0)
	v_add_f32_e32 v2, v3, v2
	ds_write_b32 v1, v2
.LBB2_14:
	s_or_b64 exec, exec, s[0:1]
	s_and_b64 vcc, exec, s[16:17]
	s_waitcnt lgkmcnt(0)
	; wave barrier
	s_cbranch_vccz .LBB2_22
; %bb.15:
	v_cmp_eq_u16_e32 vcc, 0, v7
	s_and_saveexec_b64 s[0:1], vcc
	s_cbranch_execz .LBB2_17
; %bb.16:
	ds_read2_b32 v[2:3], v1 offset1:2
	s_waitcnt lgkmcnt(0)
	v_add_f32_e32 v2, v3, v2
	ds_write_b32 v1, v2
.LBB2_17:
	s_or_b64 exec, exec, s[0:1]
	s_waitcnt lgkmcnt(0)
	; wave barrier
	s_and_saveexec_b64 s[0:1], vcc
	s_cbranch_execz .LBB2_19
; %bb.18:
	ds_read2_b32 v[2:3], v1 offset1:1
	s_waitcnt lgkmcnt(0)
	v_add_f32_e32 v2, v3, v2
	ds_write_b32 v1, v2
.LBB2_19:
	s_or_b64 exec, exec, s[0:1]
	v_cmp_gt_u32_e32 vcc, 9, v0
	v_mov_b32_e32 v2, v6
	s_waitcnt lgkmcnt(0)
	; wave barrier
	s_and_saveexec_b64 s[0:1], vcc
; %bb.20:
	v_lshl_add_u32 v2, v0, 3, v1
	ds_read_b32 v2, v2
; %bb.21:
	s_or_b64 exec, exec, s[0:1]
	v_cmp_gt_u32_e64 s[0:1], 9, v0
	s_branch .LBB2_30
.LBB2_22:
                                        ; implicit-def: $vgpr2
	v_cmp_gt_u32_e64 s[0:1], 9, v0
	s_cbranch_execz .LBB2_30
; %bb.23:
	v_cmp_lt_u32_e32 vcc, 8, v0
	s_and_saveexec_b64 s[2:3], s[0:1]
	s_cbranch_execz .LBB2_25
; %bb.24:
	s_waitcnt lgkmcnt(0)
	ds_read2_b32 v[2:3], v1 offset1:18
	s_waitcnt lgkmcnt(0)
	v_add_f32_e32 v2, v3, v2
	ds_write_b32 v1, v2
.LBB2_25:
	s_or_b64 exec, exec, s[2:3]
	s_waitcnt lgkmcnt(0)
	; wave barrier
	s_and_saveexec_b64 s[0:1], vcc
	s_xor_b64 s[0:1], exec, s[0:1]
; %bb.26:
                                        ; implicit-def: $vgpr1
; %bb.27:
	s_andn2_saveexec_b64 s[0:1], s[0:1]
	s_cbranch_execz .LBB2_29
; %bb.28:
	ds_read2_b32 v[2:3], v1 offset1:9
	s_waitcnt lgkmcnt(0)
	v_add_f32_e32 v2, v3, v2
	ds_write_b32 v1, v2
	s_waitcnt lgkmcnt(0)
	ds_read_b32 v6, v1
.LBB2_29:
	s_or_b64 exec, exec, s[0:1]
	s_waitcnt lgkmcnt(0)
	v_mov_b32_e32 v2, v6
.LBB2_30:
	v_cmp_gt_u32_e32 vcc, 9, v0
	s_and_saveexec_b64 s[0:1], vcc
	s_cbranch_execz .LBB2_34
; %bb.31:
	v_cmp_eq_f32_e64 s[0:1], s8, 0
	s_and_b64 vcc, exec, s[0:1]
	s_waitcnt lgkmcnt(0)
	v_mul_f32_e32 v1, s10, v2
	s_cbranch_vccz .LBB2_35
; %bb.32:
	v_mad_u64_u32 v[2:3], s[0:1], s6, 9, v[0:1]
	v_mov_b32_e32 v3, 0
	v_mov_b32_e32 v4, s13
	v_lshlrev_b64 v[2:3], 2, v[2:3]
	v_add_co_u32_e32 v2, vcc, s12, v2
	v_addc_co_u32_e32 v3, vcc, v4, v3, vcc
	global_store_dword v[2:3], v1, off
	s_cbranch_execnz .LBB2_34
.LBB2_33:
	v_mad_u64_u32 v[2:3], s[0:1], s6, 9, v[0:1]
	v_mov_b32_e32 v3, 0
	v_mov_b32_e32 v0, s13
	v_lshlrev_b64 v[2:3], 2, v[2:3]
	v_add_co_u32_e32 v2, vcc, s12, v2
	v_addc_co_u32_e32 v3, vcc, v0, v3, vcc
	global_load_dword v0, v[2:3], off
	s_waitcnt vmcnt(0)
	v_fmac_f32_e32 v1, s8, v0
	global_store_dword v[2:3], v1, off
.LBB2_34:
	s_endpgm
.LBB2_35:
	s_branch .LBB2_33
	.section	.rodata,"a",@progbits
	.p2align	6, 0x0
	.amdhsa_kernel _ZN9rocsparseL22gebsrmvn_mxn_16_kernelILj54ELj9ELj3EfEEvi20rocsparse_direction_NS_24const_host_device_scalarIT2_EEPKiS6_PKS3_iiS8_S4_PS3_21rocsparse_index_base_b
		.amdhsa_group_segment_fixed_size 216
		.amdhsa_private_segment_fixed_size 0
		.amdhsa_kernarg_size 80
		.amdhsa_user_sgpr_count 6
		.amdhsa_user_sgpr_private_segment_buffer 1
		.amdhsa_user_sgpr_dispatch_ptr 0
		.amdhsa_user_sgpr_queue_ptr 0
		.amdhsa_user_sgpr_kernarg_segment_ptr 1
		.amdhsa_user_sgpr_dispatch_id 0
		.amdhsa_user_sgpr_flat_scratch_init 0
		.amdhsa_user_sgpr_private_segment_size 0
		.amdhsa_uses_dynamic_stack 0
		.amdhsa_system_sgpr_private_segment_wavefront_offset 0
		.amdhsa_system_sgpr_workgroup_id_x 1
		.amdhsa_system_sgpr_workgroup_id_y 0
		.amdhsa_system_sgpr_workgroup_id_z 0
		.amdhsa_system_sgpr_workgroup_info 0
		.amdhsa_system_vgpr_workitem_id 0
		.amdhsa_next_free_vgpr 13
		.amdhsa_next_free_sgpr 22
		.amdhsa_reserve_vcc 1
		.amdhsa_reserve_flat_scratch 0
		.amdhsa_float_round_mode_32 0
		.amdhsa_float_round_mode_16_64 0
		.amdhsa_float_denorm_mode_32 3
		.amdhsa_float_denorm_mode_16_64 3
		.amdhsa_dx10_clamp 1
		.amdhsa_ieee_mode 1
		.amdhsa_fp16_overflow 0
		.amdhsa_exception_fp_ieee_invalid_op 0
		.amdhsa_exception_fp_denorm_src 0
		.amdhsa_exception_fp_ieee_div_zero 0
		.amdhsa_exception_fp_ieee_overflow 0
		.amdhsa_exception_fp_ieee_underflow 0
		.amdhsa_exception_fp_ieee_inexact 0
		.amdhsa_exception_int_div_zero 0
	.end_amdhsa_kernel
	.section	.text._ZN9rocsparseL22gebsrmvn_mxn_16_kernelILj54ELj9ELj3EfEEvi20rocsparse_direction_NS_24const_host_device_scalarIT2_EEPKiS6_PKS3_iiS8_S4_PS3_21rocsparse_index_base_b,"axG",@progbits,_ZN9rocsparseL22gebsrmvn_mxn_16_kernelILj54ELj9ELj3EfEEvi20rocsparse_direction_NS_24const_host_device_scalarIT2_EEPKiS6_PKS3_iiS8_S4_PS3_21rocsparse_index_base_b,comdat
.Lfunc_end2:
	.size	_ZN9rocsparseL22gebsrmvn_mxn_16_kernelILj54ELj9ELj3EfEEvi20rocsparse_direction_NS_24const_host_device_scalarIT2_EEPKiS6_PKS3_iiS8_S4_PS3_21rocsparse_index_base_b, .Lfunc_end2-_ZN9rocsparseL22gebsrmvn_mxn_16_kernelILj54ELj9ELj3EfEEvi20rocsparse_direction_NS_24const_host_device_scalarIT2_EEPKiS6_PKS3_iiS8_S4_PS3_21rocsparse_index_base_b
                                        ; -- End function
	.set _ZN9rocsparseL22gebsrmvn_mxn_16_kernelILj54ELj9ELj3EfEEvi20rocsparse_direction_NS_24const_host_device_scalarIT2_EEPKiS6_PKS3_iiS8_S4_PS3_21rocsparse_index_base_b.num_vgpr, 13
	.set _ZN9rocsparseL22gebsrmvn_mxn_16_kernelILj54ELj9ELj3EfEEvi20rocsparse_direction_NS_24const_host_device_scalarIT2_EEPKiS6_PKS3_iiS8_S4_PS3_21rocsparse_index_base_b.num_agpr, 0
	.set _ZN9rocsparseL22gebsrmvn_mxn_16_kernelILj54ELj9ELj3EfEEvi20rocsparse_direction_NS_24const_host_device_scalarIT2_EEPKiS6_PKS3_iiS8_S4_PS3_21rocsparse_index_base_b.numbered_sgpr, 22
	.set _ZN9rocsparseL22gebsrmvn_mxn_16_kernelILj54ELj9ELj3EfEEvi20rocsparse_direction_NS_24const_host_device_scalarIT2_EEPKiS6_PKS3_iiS8_S4_PS3_21rocsparse_index_base_b.num_named_barrier, 0
	.set _ZN9rocsparseL22gebsrmvn_mxn_16_kernelILj54ELj9ELj3EfEEvi20rocsparse_direction_NS_24const_host_device_scalarIT2_EEPKiS6_PKS3_iiS8_S4_PS3_21rocsparse_index_base_b.private_seg_size, 0
	.set _ZN9rocsparseL22gebsrmvn_mxn_16_kernelILj54ELj9ELj3EfEEvi20rocsparse_direction_NS_24const_host_device_scalarIT2_EEPKiS6_PKS3_iiS8_S4_PS3_21rocsparse_index_base_b.uses_vcc, 1
	.set _ZN9rocsparseL22gebsrmvn_mxn_16_kernelILj54ELj9ELj3EfEEvi20rocsparse_direction_NS_24const_host_device_scalarIT2_EEPKiS6_PKS3_iiS8_S4_PS3_21rocsparse_index_base_b.uses_flat_scratch, 0
	.set _ZN9rocsparseL22gebsrmvn_mxn_16_kernelILj54ELj9ELj3EfEEvi20rocsparse_direction_NS_24const_host_device_scalarIT2_EEPKiS6_PKS3_iiS8_S4_PS3_21rocsparse_index_base_b.has_dyn_sized_stack, 0
	.set _ZN9rocsparseL22gebsrmvn_mxn_16_kernelILj54ELj9ELj3EfEEvi20rocsparse_direction_NS_24const_host_device_scalarIT2_EEPKiS6_PKS3_iiS8_S4_PS3_21rocsparse_index_base_b.has_recursion, 0
	.set _ZN9rocsparseL22gebsrmvn_mxn_16_kernelILj54ELj9ELj3EfEEvi20rocsparse_direction_NS_24const_host_device_scalarIT2_EEPKiS6_PKS3_iiS8_S4_PS3_21rocsparse_index_base_b.has_indirect_call, 0
	.section	.AMDGPU.csdata,"",@progbits
; Kernel info:
; codeLenInByte = 956
; TotalNumSgprs: 26
; NumVgprs: 13
; ScratchSize: 0
; MemoryBound: 0
; FloatMode: 240
; IeeeMode: 1
; LDSByteSize: 216 bytes/workgroup (compile time only)
; SGPRBlocks: 3
; VGPRBlocks: 3
; NumSGPRsForWavesPerEU: 26
; NumVGPRsForWavesPerEU: 13
; Occupancy: 10
; WaveLimiterHint : 1
; COMPUTE_PGM_RSRC2:SCRATCH_EN: 0
; COMPUTE_PGM_RSRC2:USER_SGPR: 6
; COMPUTE_PGM_RSRC2:TRAP_HANDLER: 0
; COMPUTE_PGM_RSRC2:TGID_X_EN: 1
; COMPUTE_PGM_RSRC2:TGID_Y_EN: 0
; COMPUTE_PGM_RSRC2:TGID_Z_EN: 0
; COMPUTE_PGM_RSRC2:TIDIG_COMP_CNT: 0
	.section	.text._ZN9rocsparseL22gebsrmvn_mxn_16_kernelILj36ELj9ELj4EfEEvi20rocsparse_direction_NS_24const_host_device_scalarIT2_EEPKiS6_PKS3_iiS8_S4_PS3_21rocsparse_index_base_b,"axG",@progbits,_ZN9rocsparseL22gebsrmvn_mxn_16_kernelILj36ELj9ELj4EfEEvi20rocsparse_direction_NS_24const_host_device_scalarIT2_EEPKiS6_PKS3_iiS8_S4_PS3_21rocsparse_index_base_b,comdat
	.globl	_ZN9rocsparseL22gebsrmvn_mxn_16_kernelILj36ELj9ELj4EfEEvi20rocsparse_direction_NS_24const_host_device_scalarIT2_EEPKiS6_PKS3_iiS8_S4_PS3_21rocsparse_index_base_b ; -- Begin function _ZN9rocsparseL22gebsrmvn_mxn_16_kernelILj36ELj9ELj4EfEEvi20rocsparse_direction_NS_24const_host_device_scalarIT2_EEPKiS6_PKS3_iiS8_S4_PS3_21rocsparse_index_base_b
	.p2align	8
	.type	_ZN9rocsparseL22gebsrmvn_mxn_16_kernelILj36ELj9ELj4EfEEvi20rocsparse_direction_NS_24const_host_device_scalarIT2_EEPKiS6_PKS3_iiS8_S4_PS3_21rocsparse_index_base_b,@function
_ZN9rocsparseL22gebsrmvn_mxn_16_kernelILj36ELj9ELj4EfEEvi20rocsparse_direction_NS_24const_host_device_scalarIT2_EEPKiS6_PKS3_iiS8_S4_PS3_21rocsparse_index_base_b: ; @_ZN9rocsparseL22gebsrmvn_mxn_16_kernelILj36ELj9ELj4EfEEvi20rocsparse_direction_NS_24const_host_device_scalarIT2_EEPKiS6_PKS3_iiS8_S4_PS3_21rocsparse_index_base_b
; %bb.0:
	s_load_dwordx2 s[14:15], s[4:5], 0x48
	s_load_dwordx2 s[10:11], s[4:5], 0x8
	;; [unrolled: 1-line block ×3, first 2 shown]
	s_waitcnt lgkmcnt(0)
	s_bitcmp1_b32 s15, 0
	s_cselect_b64 s[2:3], -1, 0
	s_xor_b64 s[0:1], s[2:3], -1
	s_and_b64 vcc, exec, s[2:3]
	s_cbranch_vccnz .LBB3_2
; %bb.1:
	s_load_dword s10, s[10:11], 0x0
.LBB3_2:
	s_andn2_b64 vcc, exec, s[0:1]
	s_cbranch_vccnz .LBB3_4
; %bb.3:
	s_load_dword s8, s[8:9], 0x0
.LBB3_4:
	s_waitcnt lgkmcnt(0)
	v_cmp_eq_f32_e64 s[0:1], s10, 0
	v_cmp_eq_f32_e64 s[2:3], s8, 1.0
	s_and_b64 s[0:1], s[0:1], s[2:3]
	s_and_b64 vcc, exec, s[0:1]
	s_cbranch_vccnz .LBB3_32
; %bb.5:
	s_load_dword s2, s[4:5], 0x4
	s_load_dwordx2 s[0:1], s[4:5], 0x10
	v_and_b32_e32 v6, 3, v0
	v_mov_b32_e32 v7, v6
	s_waitcnt lgkmcnt(0)
	s_cmp_lg_u32 s2, 1
	s_cselect_b64 s[16:17], -1, 0
	s_and_b64 vcc, exec, s[16:17]
	s_cbranch_vccnz .LBB3_7
; %bb.6:
	v_mul_u32_u24_e32 v1, 0x1c72, v0
	v_bfe_u32 v7, v1, 16, 2
.LBB3_7:
	s_ashr_i32 s7, s6, 31
	s_lshl_b64 s[2:3], s[6:7], 2
	s_add_u32 s0, s0, s2
	s_addc_u32 s1, s1, s3
	s_load_dwordx2 s[20:21], s[0:1], 0x0
	s_load_dwordx2 s[12:13], s[4:5], 0x40
	v_mov_b32_e32 v5, 0
	s_waitcnt lgkmcnt(0)
	s_cmp_ge_i32 s20, s21
	s_cbranch_scc1 .LBB3_12
; %bb.8:
	s_load_dwordx4 s[0:3], s[4:5], 0x18
	s_load_dwordx2 s[18:19], s[4:5], 0x30
	v_mad_u64_u32 v[1:2], s[4:5], s20, 36, v[0:1]
	s_mul_i32 s4, s14, 36
	v_mov_b32_e32 v2, 0
	s_sub_i32 s7, s21, s14
	s_sub_i32 s9, s20, s14
	v_mul_u32_u24_e32 v8, 0x71d, v0
	v_subrev_u32_e32 v1, s4, v1
	v_mov_b32_e32 v5, v2
	s_branch .LBB3_10
.LBB3_9:                                ;   in Loop: Header=BB3_10 Depth=1
	s_or_b64 exec, exec, s[4:5]
	s_add_i32 s9, s9, 1
	s_cmp_ge_i32 s9, s7
	v_add_u32_e32 v1, 36, v1
	s_cbranch_scc1 .LBB3_12
.LBB3_10:                               ; =>This Inner Loop Header: Depth=1
	v_add_u32_sdwa v3, v8, s9 dst_sel:DWORD dst_unused:UNUSED_PAD src0_sel:WORD_1 src1_sel:DWORD
	v_cmp_gt_i32_e32 vcc, s7, v3
	s_and_saveexec_b64 s[4:5], vcc
	s_cbranch_execz .LBB3_9
; %bb.11:                               ;   in Loop: Header=BB3_10 Depth=1
	v_ashrrev_i32_e32 v4, 31, v3
	v_lshlrev_b64 v[3:4], 2, v[3:4]
	s_waitcnt lgkmcnt(0)
	v_mov_b32_e32 v9, s1
	v_add_co_u32_e32 v3, vcc, s0, v3
	v_addc_co_u32_e32 v4, vcc, v9, v4, vcc
	global_load_dword v9, v[3:4], off
	v_lshlrev_b64 v[3:4], 2, v[1:2]
	v_mov_b32_e32 v10, s3
	v_add_co_u32_e32 v3, vcc, s2, v3
	v_addc_co_u32_e32 v4, vcc, v10, v4, vcc
	global_load_dword v10, v[3:4], off
	v_mov_b32_e32 v11, s19
	s_waitcnt vmcnt(1)
	v_subrev_u32_e32 v3, s14, v9
	v_lshl_or_b32 v3, v3, 2, v7
	v_ashrrev_i32_e32 v4, 31, v3
	v_lshlrev_b64 v[3:4], 2, v[3:4]
	v_add_co_u32_e32 v3, vcc, s18, v3
	v_addc_co_u32_e32 v4, vcc, v11, v4, vcc
	global_load_dword v3, v[3:4], off
	s_waitcnt vmcnt(0)
	v_fmac_f32_e32 v5, v10, v3
	s_branch .LBB3_9
.LBB3_12:
	v_lshlrev_b32_e32 v1, 2, v0
	s_and_b64 vcc, exec, s[16:17]
	ds_write_b32 v1, v5
	s_waitcnt lgkmcnt(0)
	; wave barrier
	s_cbranch_vccz .LBB3_20
; %bb.13:
	v_cmp_gt_u32_e32 vcc, 2, v6
	s_and_saveexec_b64 s[0:1], vcc
	s_cbranch_execz .LBB3_15
; %bb.14:
	ds_read2_b32 v[2:3], v1 offset1:2
	s_waitcnt lgkmcnt(0)
	v_add_f32_e32 v2, v3, v2
	ds_write_b32 v1, v2
.LBB3_15:
	s_or_b64 exec, exec, s[0:1]
	v_cmp_eq_u32_e32 vcc, 0, v6
	s_waitcnt lgkmcnt(0)
	; wave barrier
	s_and_saveexec_b64 s[0:1], vcc
	s_cbranch_execz .LBB3_17
; %bb.16:
	ds_read2_b32 v[2:3], v1 offset1:1
	s_waitcnt lgkmcnt(0)
	v_add_f32_e32 v2, v3, v2
	ds_write_b32 v1, v2
.LBB3_17:
	s_or_b64 exec, exec, s[0:1]
	v_cmp_gt_u32_e32 vcc, 9, v0
	v_mov_b32_e32 v2, v5
	s_waitcnt lgkmcnt(0)
	; wave barrier
	s_and_saveexec_b64 s[0:1], vcc
; %bb.18:
	v_mad_u32_u24 v2, v0, 12, v1
	ds_read_b32 v2, v2
; %bb.19:
	s_or_b64 exec, exec, s[0:1]
	s_branch .LBB3_28
.LBB3_20:
                                        ; implicit-def: $vgpr2
	s_cbranch_execz .LBB3_28
; %bb.21:
	v_cmp_gt_u32_e32 vcc, 18, v0
	s_and_saveexec_b64 s[0:1], vcc
	s_cbranch_execz .LBB3_23
; %bb.22:
	s_waitcnt lgkmcnt(0)
	ds_read2_b32 v[2:3], v1 offset1:18
	s_waitcnt lgkmcnt(0)
	v_add_f32_e32 v2, v3, v2
	ds_write_b32 v1, v2
.LBB3_23:
	s_or_b64 exec, exec, s[0:1]
	v_cmp_lt_u32_e32 vcc, 8, v0
	s_waitcnt lgkmcnt(0)
	s_and_saveexec_b64 s[0:1], vcc
	s_xor_b64 s[0:1], exec, s[0:1]
; %bb.24:
                                        ; implicit-def: $vgpr1
; %bb.25:
	s_andn2_saveexec_b64 s[0:1], s[0:1]
	s_cbranch_execz .LBB3_27
; %bb.26:
	ds_read2_b32 v[2:3], v1 offset1:9
	s_waitcnt lgkmcnt(0)
	v_add_f32_e32 v2, v3, v2
	ds_write_b32 v1, v2
	s_waitcnt lgkmcnt(0)
	ds_read_b32 v5, v1
.LBB3_27:
	s_or_b64 exec, exec, s[0:1]
	s_waitcnt lgkmcnt(0)
	v_mov_b32_e32 v2, v5
.LBB3_28:
	v_cmp_gt_u32_e32 vcc, 9, v0
	s_and_saveexec_b64 s[0:1], vcc
	s_cbranch_execz .LBB3_32
; %bb.29:
	v_cmp_eq_f32_e64 s[0:1], s8, 0
	s_and_b64 vcc, exec, s[0:1]
	s_waitcnt lgkmcnt(0)
	v_mul_f32_e32 v1, s10, v2
	s_cbranch_vccz .LBB3_33
; %bb.30:
	v_mad_u64_u32 v[2:3], s[0:1], s6, 9, v[0:1]
	v_mov_b32_e32 v3, 0
	v_mov_b32_e32 v4, s13
	v_lshlrev_b64 v[2:3], 2, v[2:3]
	v_add_co_u32_e32 v2, vcc, s12, v2
	v_addc_co_u32_e32 v3, vcc, v4, v3, vcc
	global_store_dword v[2:3], v1, off
	s_cbranch_execnz .LBB3_32
.LBB3_31:
	v_mad_u64_u32 v[2:3], s[0:1], s6, 9, v[0:1]
	v_mov_b32_e32 v3, 0
	v_mov_b32_e32 v0, s13
	v_lshlrev_b64 v[2:3], 2, v[2:3]
	v_add_co_u32_e32 v2, vcc, s12, v2
	v_addc_co_u32_e32 v3, vcc, v0, v3, vcc
	global_load_dword v0, v[2:3], off
	s_waitcnt vmcnt(0)
	v_fmac_f32_e32 v1, s8, v0
	global_store_dword v[2:3], v1, off
.LBB3_32:
	s_endpgm
.LBB3_33:
	s_branch .LBB3_31
	.section	.rodata,"a",@progbits
	.p2align	6, 0x0
	.amdhsa_kernel _ZN9rocsparseL22gebsrmvn_mxn_16_kernelILj36ELj9ELj4EfEEvi20rocsparse_direction_NS_24const_host_device_scalarIT2_EEPKiS6_PKS3_iiS8_S4_PS3_21rocsparse_index_base_b
		.amdhsa_group_segment_fixed_size 144
		.amdhsa_private_segment_fixed_size 0
		.amdhsa_kernarg_size 80
		.amdhsa_user_sgpr_count 6
		.amdhsa_user_sgpr_private_segment_buffer 1
		.amdhsa_user_sgpr_dispatch_ptr 0
		.amdhsa_user_sgpr_queue_ptr 0
		.amdhsa_user_sgpr_kernarg_segment_ptr 1
		.amdhsa_user_sgpr_dispatch_id 0
		.amdhsa_user_sgpr_flat_scratch_init 0
		.amdhsa_user_sgpr_private_segment_size 0
		.amdhsa_uses_dynamic_stack 0
		.amdhsa_system_sgpr_private_segment_wavefront_offset 0
		.amdhsa_system_sgpr_workgroup_id_x 1
		.amdhsa_system_sgpr_workgroup_id_y 0
		.amdhsa_system_sgpr_workgroup_id_z 0
		.amdhsa_system_sgpr_workgroup_info 0
		.amdhsa_system_vgpr_workitem_id 0
		.amdhsa_next_free_vgpr 12
		.amdhsa_next_free_sgpr 22
		.amdhsa_reserve_vcc 1
		.amdhsa_reserve_flat_scratch 0
		.amdhsa_float_round_mode_32 0
		.amdhsa_float_round_mode_16_64 0
		.amdhsa_float_denorm_mode_32 3
		.amdhsa_float_denorm_mode_16_64 3
		.amdhsa_dx10_clamp 1
		.amdhsa_ieee_mode 1
		.amdhsa_fp16_overflow 0
		.amdhsa_exception_fp_ieee_invalid_op 0
		.amdhsa_exception_fp_denorm_src 0
		.amdhsa_exception_fp_ieee_div_zero 0
		.amdhsa_exception_fp_ieee_overflow 0
		.amdhsa_exception_fp_ieee_underflow 0
		.amdhsa_exception_fp_ieee_inexact 0
		.amdhsa_exception_int_div_zero 0
	.end_amdhsa_kernel
	.section	.text._ZN9rocsparseL22gebsrmvn_mxn_16_kernelILj36ELj9ELj4EfEEvi20rocsparse_direction_NS_24const_host_device_scalarIT2_EEPKiS6_PKS3_iiS8_S4_PS3_21rocsparse_index_base_b,"axG",@progbits,_ZN9rocsparseL22gebsrmvn_mxn_16_kernelILj36ELj9ELj4EfEEvi20rocsparse_direction_NS_24const_host_device_scalarIT2_EEPKiS6_PKS3_iiS8_S4_PS3_21rocsparse_index_base_b,comdat
.Lfunc_end3:
	.size	_ZN9rocsparseL22gebsrmvn_mxn_16_kernelILj36ELj9ELj4EfEEvi20rocsparse_direction_NS_24const_host_device_scalarIT2_EEPKiS6_PKS3_iiS8_S4_PS3_21rocsparse_index_base_b, .Lfunc_end3-_ZN9rocsparseL22gebsrmvn_mxn_16_kernelILj36ELj9ELj4EfEEvi20rocsparse_direction_NS_24const_host_device_scalarIT2_EEPKiS6_PKS3_iiS8_S4_PS3_21rocsparse_index_base_b
                                        ; -- End function
	.set _ZN9rocsparseL22gebsrmvn_mxn_16_kernelILj36ELj9ELj4EfEEvi20rocsparse_direction_NS_24const_host_device_scalarIT2_EEPKiS6_PKS3_iiS8_S4_PS3_21rocsparse_index_base_b.num_vgpr, 12
	.set _ZN9rocsparseL22gebsrmvn_mxn_16_kernelILj36ELj9ELj4EfEEvi20rocsparse_direction_NS_24const_host_device_scalarIT2_EEPKiS6_PKS3_iiS8_S4_PS3_21rocsparse_index_base_b.num_agpr, 0
	.set _ZN9rocsparseL22gebsrmvn_mxn_16_kernelILj36ELj9ELj4EfEEvi20rocsparse_direction_NS_24const_host_device_scalarIT2_EEPKiS6_PKS3_iiS8_S4_PS3_21rocsparse_index_base_b.numbered_sgpr, 22
	.set _ZN9rocsparseL22gebsrmvn_mxn_16_kernelILj36ELj9ELj4EfEEvi20rocsparse_direction_NS_24const_host_device_scalarIT2_EEPKiS6_PKS3_iiS8_S4_PS3_21rocsparse_index_base_b.num_named_barrier, 0
	.set _ZN9rocsparseL22gebsrmvn_mxn_16_kernelILj36ELj9ELj4EfEEvi20rocsparse_direction_NS_24const_host_device_scalarIT2_EEPKiS6_PKS3_iiS8_S4_PS3_21rocsparse_index_base_b.private_seg_size, 0
	.set _ZN9rocsparseL22gebsrmvn_mxn_16_kernelILj36ELj9ELj4EfEEvi20rocsparse_direction_NS_24const_host_device_scalarIT2_EEPKiS6_PKS3_iiS8_S4_PS3_21rocsparse_index_base_b.uses_vcc, 1
	.set _ZN9rocsparseL22gebsrmvn_mxn_16_kernelILj36ELj9ELj4EfEEvi20rocsparse_direction_NS_24const_host_device_scalarIT2_EEPKiS6_PKS3_iiS8_S4_PS3_21rocsparse_index_base_b.uses_flat_scratch, 0
	.set _ZN9rocsparseL22gebsrmvn_mxn_16_kernelILj36ELj9ELj4EfEEvi20rocsparse_direction_NS_24const_host_device_scalarIT2_EEPKiS6_PKS3_iiS8_S4_PS3_21rocsparse_index_base_b.has_dyn_sized_stack, 0
	.set _ZN9rocsparseL22gebsrmvn_mxn_16_kernelILj36ELj9ELj4EfEEvi20rocsparse_direction_NS_24const_host_device_scalarIT2_EEPKiS6_PKS3_iiS8_S4_PS3_21rocsparse_index_base_b.has_recursion, 0
	.set _ZN9rocsparseL22gebsrmvn_mxn_16_kernelILj36ELj9ELj4EfEEvi20rocsparse_direction_NS_24const_host_device_scalarIT2_EEPKiS6_PKS3_iiS8_S4_PS3_21rocsparse_index_base_b.has_indirect_call, 0
	.section	.AMDGPU.csdata,"",@progbits
; Kernel info:
; codeLenInByte = 848
; TotalNumSgprs: 26
; NumVgprs: 12
; ScratchSize: 0
; MemoryBound: 0
; FloatMode: 240
; IeeeMode: 1
; LDSByteSize: 144 bytes/workgroup (compile time only)
; SGPRBlocks: 3
; VGPRBlocks: 2
; NumSGPRsForWavesPerEU: 26
; NumVGPRsForWavesPerEU: 12
; Occupancy: 10
; WaveLimiterHint : 1
; COMPUTE_PGM_RSRC2:SCRATCH_EN: 0
; COMPUTE_PGM_RSRC2:USER_SGPR: 6
; COMPUTE_PGM_RSRC2:TRAP_HANDLER: 0
; COMPUTE_PGM_RSRC2:TGID_X_EN: 1
; COMPUTE_PGM_RSRC2:TGID_Y_EN: 0
; COMPUTE_PGM_RSRC2:TGID_Z_EN: 0
; COMPUTE_PGM_RSRC2:TIDIG_COMP_CNT: 0
	.section	.text._ZN9rocsparseL22gebsrmvn_mxn_16_kernelILj45ELj9ELj5EfEEvi20rocsparse_direction_NS_24const_host_device_scalarIT2_EEPKiS6_PKS3_iiS8_S4_PS3_21rocsparse_index_base_b,"axG",@progbits,_ZN9rocsparseL22gebsrmvn_mxn_16_kernelILj45ELj9ELj5EfEEvi20rocsparse_direction_NS_24const_host_device_scalarIT2_EEPKiS6_PKS3_iiS8_S4_PS3_21rocsparse_index_base_b,comdat
	.globl	_ZN9rocsparseL22gebsrmvn_mxn_16_kernelILj45ELj9ELj5EfEEvi20rocsparse_direction_NS_24const_host_device_scalarIT2_EEPKiS6_PKS3_iiS8_S4_PS3_21rocsparse_index_base_b ; -- Begin function _ZN9rocsparseL22gebsrmvn_mxn_16_kernelILj45ELj9ELj5EfEEvi20rocsparse_direction_NS_24const_host_device_scalarIT2_EEPKiS6_PKS3_iiS8_S4_PS3_21rocsparse_index_base_b
	.p2align	8
	.type	_ZN9rocsparseL22gebsrmvn_mxn_16_kernelILj45ELj9ELj5EfEEvi20rocsparse_direction_NS_24const_host_device_scalarIT2_EEPKiS6_PKS3_iiS8_S4_PS3_21rocsparse_index_base_b,@function
_ZN9rocsparseL22gebsrmvn_mxn_16_kernelILj45ELj9ELj5EfEEvi20rocsparse_direction_NS_24const_host_device_scalarIT2_EEPKiS6_PKS3_iiS8_S4_PS3_21rocsparse_index_base_b: ; @_ZN9rocsparseL22gebsrmvn_mxn_16_kernelILj45ELj9ELj5EfEEvi20rocsparse_direction_NS_24const_host_device_scalarIT2_EEPKiS6_PKS3_iiS8_S4_PS3_21rocsparse_index_base_b
; %bb.0:
	s_load_dwordx2 s[14:15], s[4:5], 0x48
	s_load_dwordx2 s[10:11], s[4:5], 0x8
	;; [unrolled: 1-line block ×3, first 2 shown]
	s_waitcnt lgkmcnt(0)
	s_bitcmp1_b32 s15, 0
	s_cselect_b64 s[2:3], -1, 0
	s_xor_b64 s[0:1], s[2:3], -1
	s_and_b64 vcc, exec, s[2:3]
	s_cbranch_vccnz .LBB4_2
; %bb.1:
	s_load_dword s10, s[10:11], 0x0
.LBB4_2:
	s_andn2_b64 vcc, exec, s[0:1]
	s_cbranch_vccnz .LBB4_4
; %bb.3:
	s_load_dword s8, s[8:9], 0x0
.LBB4_4:
	s_waitcnt lgkmcnt(0)
	v_cmp_eq_f32_e64 s[0:1], s10, 0
	v_cmp_eq_f32_e64 s[2:3], s8, 1.0
	s_and_b64 s[0:1], s[0:1], s[2:3]
	s_and_b64 vcc, exec, s[0:1]
	s_cbranch_vccnz .LBB4_36
; %bb.5:
	s_load_dwordx2 s[0:1], s[4:5], 0x10
	s_load_dword s2, s[4:5], 0x4
	v_mul_u32_u24_e32 v1, 0x3334, v0
	v_mov_b32_e32 v2, 5
	v_mul_lo_u16_sdwa v1, v1, v2 dst_sel:DWORD dst_unused:UNUSED_PAD src0_sel:WORD_1 src1_sel:DWORD
	v_sub_u16_e32 v7, v0, v1
	s_waitcnt lgkmcnt(0)
	s_cmp_lg_u32 s2, 1
	s_cselect_b64 s[16:17], -1, 0
	s_and_b64 vcc, exec, s[16:17]
	v_mov_b32_e32 v1, v7
	s_cbranch_vccnz .LBB4_7
; %bb.6:
	s_movk_i32 s2, 0x1c72
	v_mul_u32_u24_sdwa v1, v0, s2 dst_sel:DWORD dst_unused:UNUSED_PAD src0_sel:WORD_0 src1_sel:DWORD
	v_mov_b32_e32 v3, 52
	v_mul_lo_u16_sdwa v3, v1, v3 dst_sel:DWORD dst_unused:UNUSED_PAD src0_sel:WORD_1 src1_sel:DWORD
	v_mul_lo_u16_sdwa v2, v3, v2 dst_sel:DWORD dst_unused:UNUSED_PAD src0_sel:BYTE_1 src1_sel:DWORD
	v_sub_u16_sdwa v1, v1, v2 dst_sel:DWORD dst_unused:UNUSED_PAD src0_sel:WORD_1 src1_sel:DWORD
	v_and_b32_e32 v1, 0xff, v1
.LBB4_7:
	s_ashr_i32 s7, s6, 31
	s_lshl_b64 s[2:3], s[6:7], 2
	s_add_u32 s0, s0, s2
	s_addc_u32 s1, s1, s3
	s_load_dwordx2 s[20:21], s[0:1], 0x0
	s_load_dwordx2 s[12:13], s[4:5], 0x40
	v_mov_b32_e32 v6, 0
	s_waitcnt lgkmcnt(0)
	s_cmp_ge_i32 s20, s21
	s_cbranch_scc1 .LBB4_12
; %bb.8:
	s_load_dwordx4 s[0:3], s[4:5], 0x18
	s_load_dwordx2 s[18:19], s[4:5], 0x30
	v_mad_u64_u32 v[2:3], s[4:5], s20, 45, v[0:1]
	s_movk_i32 s4, 0x5b1
	v_mul_u32_u24_sdwa v8, v0, s4 dst_sel:DWORD dst_unused:UNUSED_PAD src0_sel:WORD_0 src1_sel:DWORD
	s_mul_i32 s4, s14, 45
	v_mov_b32_e32 v3, 0
	s_sub_i32 s7, s21, s14
	s_sub_i32 s9, s20, s14
	v_subrev_u32_e32 v2, s4, v2
	v_mov_b32_e32 v6, v3
	s_branch .LBB4_10
.LBB4_9:                                ;   in Loop: Header=BB4_10 Depth=1
	s_or_b64 exec, exec, s[4:5]
	s_add_i32 s9, s9, 1
	s_cmp_ge_i32 s9, s7
	v_add_u32_e32 v2, 45, v2
	s_cbranch_scc1 .LBB4_12
.LBB4_10:                               ; =>This Inner Loop Header: Depth=1
	v_add_u32_sdwa v4, v8, s9 dst_sel:DWORD dst_unused:UNUSED_PAD src0_sel:WORD_1 src1_sel:DWORD
	v_cmp_gt_i32_e32 vcc, s7, v4
	s_and_saveexec_b64 s[4:5], vcc
	s_cbranch_execz .LBB4_9
; %bb.11:                               ;   in Loop: Header=BB4_10 Depth=1
	v_ashrrev_i32_e32 v5, 31, v4
	v_lshlrev_b64 v[4:5], 2, v[4:5]
	s_waitcnt lgkmcnt(0)
	v_mov_b32_e32 v9, s1
	v_add_co_u32_e32 v4, vcc, s0, v4
	v_addc_co_u32_e32 v5, vcc, v9, v5, vcc
	global_load_dword v9, v[4:5], off
	v_lshlrev_b64 v[4:5], 2, v[2:3]
	v_mov_b32_e32 v11, s3
	v_add_co_u32_e32 v4, vcc, s2, v4
	v_addc_co_u32_e32 v5, vcc, v11, v5, vcc
	global_load_dword v11, v[4:5], off
	v_mov_b32_e32 v12, s19
	s_waitcnt vmcnt(1)
	v_subrev_u32_e32 v9, s14, v9
	v_mad_u64_u32 v[9:10], s[20:21], v9, 5, v[1:2]
	v_ashrrev_i32_e32 v10, 31, v9
	v_lshlrev_b64 v[4:5], 2, v[9:10]
	v_add_co_u32_e32 v4, vcc, s18, v4
	v_addc_co_u32_e32 v5, vcc, v12, v5, vcc
	global_load_dword v4, v[4:5], off
	s_waitcnt vmcnt(0)
	v_fmac_f32_e32 v6, v11, v4
	s_branch .LBB4_9
.LBB4_12:
	v_lshlrev_b32_e32 v1, 2, v0
	s_and_b64 vcc, exec, s[16:17]
	ds_write_b32 v1, v6
	s_waitcnt lgkmcnt(0)
	; wave barrier
	s_cbranch_vccz .LBB4_22
; %bb.13:
	v_cmp_eq_u16_e32 vcc, 0, v7
	s_and_saveexec_b64 s[0:1], vcc
	s_cbranch_execz .LBB4_15
; %bb.14:
	ds_read2_b32 v[2:3], v1 offset1:4
	s_waitcnt lgkmcnt(0)
	v_add_f32_e32 v2, v3, v2
	ds_write_b32 v1, v2
.LBB4_15:
	s_or_b64 exec, exec, s[0:1]
	v_cmp_gt_u16_e64 s[0:1], 2, v7
	s_waitcnt lgkmcnt(0)
	; wave barrier
	s_and_saveexec_b64 s[2:3], s[0:1]
	s_cbranch_execz .LBB4_17
; %bb.16:
	ds_read2_b32 v[2:3], v1 offset1:2
	s_waitcnt lgkmcnt(0)
	v_add_f32_e32 v2, v3, v2
	ds_write_b32 v1, v2
.LBB4_17:
	s_or_b64 exec, exec, s[2:3]
	s_waitcnt lgkmcnt(0)
	; wave barrier
	s_and_saveexec_b64 s[0:1], vcc
	s_cbranch_execz .LBB4_19
; %bb.18:
	ds_read2_b32 v[2:3], v1 offset1:1
	s_waitcnt lgkmcnt(0)
	v_add_f32_e32 v2, v3, v2
	ds_write_b32 v1, v2
.LBB4_19:
	s_or_b64 exec, exec, s[0:1]
	v_cmp_gt_u32_e32 vcc, 9, v0
	v_mov_b32_e32 v2, v6
	s_waitcnt lgkmcnt(0)
	; wave barrier
	s_and_saveexec_b64 s[0:1], vcc
; %bb.20:
	v_lshl_add_u32 v2, v0, 4, v1
	ds_read_b32 v2, v2
; %bb.21:
	s_or_b64 exec, exec, s[0:1]
	v_cmp_gt_u32_e64 s[0:1], 9, v0
	s_branch .LBB4_32
.LBB4_22:
                                        ; implicit-def: $vgpr2
	v_cmp_gt_u32_e64 s[0:1], 9, v0
	s_cbranch_execz .LBB4_32
; %bb.23:
	v_cmp_lt_u32_e32 vcc, 8, v0
	s_and_saveexec_b64 s[2:3], s[0:1]
	s_cbranch_execz .LBB4_25
; %bb.24:
	s_waitcnt lgkmcnt(0)
	ds_read2_b32 v[2:3], v1 offset1:36
	s_waitcnt lgkmcnt(0)
	v_add_f32_e32 v2, v3, v2
	ds_write_b32 v1, v2
.LBB4_25:
	s_or_b64 exec, exec, s[2:3]
	v_cmp_gt_u32_e64 s[0:1], 18, v0
	s_waitcnt lgkmcnt(0)
	; wave barrier
	s_and_saveexec_b64 s[2:3], s[0:1]
	s_cbranch_execz .LBB4_27
; %bb.26:
	ds_read2_b32 v[2:3], v1 offset1:18
	s_waitcnt lgkmcnt(0)
	v_add_f32_e32 v2, v3, v2
	ds_write_b32 v1, v2
.LBB4_27:
	s_or_b64 exec, exec, s[2:3]
	s_waitcnt lgkmcnt(0)
	s_and_saveexec_b64 s[0:1], vcc
	s_xor_b64 s[0:1], exec, s[0:1]
; %bb.28:
                                        ; implicit-def: $vgpr1
; %bb.29:
	s_andn2_saveexec_b64 s[0:1], s[0:1]
	s_cbranch_execz .LBB4_31
; %bb.30:
	ds_read2_b32 v[2:3], v1 offset1:9
	s_waitcnt lgkmcnt(0)
	v_add_f32_e32 v2, v3, v2
	ds_write_b32 v1, v2
	s_waitcnt lgkmcnt(0)
	ds_read_b32 v6, v1
.LBB4_31:
	s_or_b64 exec, exec, s[0:1]
	s_waitcnt lgkmcnt(0)
	v_mov_b32_e32 v2, v6
.LBB4_32:
	v_cmp_gt_u32_e32 vcc, 9, v0
	s_and_saveexec_b64 s[0:1], vcc
	s_cbranch_execz .LBB4_36
; %bb.33:
	v_cmp_eq_f32_e64 s[0:1], s8, 0
	s_and_b64 vcc, exec, s[0:1]
	s_waitcnt lgkmcnt(0)
	v_mul_f32_e32 v1, s10, v2
	s_cbranch_vccz .LBB4_37
; %bb.34:
	v_mad_u64_u32 v[2:3], s[0:1], s6, 9, v[0:1]
	v_mov_b32_e32 v3, 0
	v_mov_b32_e32 v4, s13
	v_lshlrev_b64 v[2:3], 2, v[2:3]
	v_add_co_u32_e32 v2, vcc, s12, v2
	v_addc_co_u32_e32 v3, vcc, v4, v3, vcc
	global_store_dword v[2:3], v1, off
	s_cbranch_execnz .LBB4_36
.LBB4_35:
	v_mad_u64_u32 v[2:3], s[0:1], s6, 9, v[0:1]
	v_mov_b32_e32 v3, 0
	v_mov_b32_e32 v0, s13
	v_lshlrev_b64 v[2:3], 2, v[2:3]
	v_add_co_u32_e32 v2, vcc, s12, v2
	v_addc_co_u32_e32 v3, vcc, v0, v3, vcc
	global_load_dword v0, v[2:3], off
	s_waitcnt vmcnt(0)
	v_fmac_f32_e32 v1, s8, v0
	global_store_dword v[2:3], v1, off
.LBB4_36:
	s_endpgm
.LBB4_37:
	s_branch .LBB4_35
	.section	.rodata,"a",@progbits
	.p2align	6, 0x0
	.amdhsa_kernel _ZN9rocsparseL22gebsrmvn_mxn_16_kernelILj45ELj9ELj5EfEEvi20rocsparse_direction_NS_24const_host_device_scalarIT2_EEPKiS6_PKS3_iiS8_S4_PS3_21rocsparse_index_base_b
		.amdhsa_group_segment_fixed_size 180
		.amdhsa_private_segment_fixed_size 0
		.amdhsa_kernarg_size 80
		.amdhsa_user_sgpr_count 6
		.amdhsa_user_sgpr_private_segment_buffer 1
		.amdhsa_user_sgpr_dispatch_ptr 0
		.amdhsa_user_sgpr_queue_ptr 0
		.amdhsa_user_sgpr_kernarg_segment_ptr 1
		.amdhsa_user_sgpr_dispatch_id 0
		.amdhsa_user_sgpr_flat_scratch_init 0
		.amdhsa_user_sgpr_private_segment_size 0
		.amdhsa_uses_dynamic_stack 0
		.amdhsa_system_sgpr_private_segment_wavefront_offset 0
		.amdhsa_system_sgpr_workgroup_id_x 1
		.amdhsa_system_sgpr_workgroup_id_y 0
		.amdhsa_system_sgpr_workgroup_id_z 0
		.amdhsa_system_sgpr_workgroup_info 0
		.amdhsa_system_vgpr_workitem_id 0
		.amdhsa_next_free_vgpr 13
		.amdhsa_next_free_sgpr 22
		.amdhsa_reserve_vcc 1
		.amdhsa_reserve_flat_scratch 0
		.amdhsa_float_round_mode_32 0
		.amdhsa_float_round_mode_16_64 0
		.amdhsa_float_denorm_mode_32 3
		.amdhsa_float_denorm_mode_16_64 3
		.amdhsa_dx10_clamp 1
		.amdhsa_ieee_mode 1
		.amdhsa_fp16_overflow 0
		.amdhsa_exception_fp_ieee_invalid_op 0
		.amdhsa_exception_fp_denorm_src 0
		.amdhsa_exception_fp_ieee_div_zero 0
		.amdhsa_exception_fp_ieee_overflow 0
		.amdhsa_exception_fp_ieee_underflow 0
		.amdhsa_exception_fp_ieee_inexact 0
		.amdhsa_exception_int_div_zero 0
	.end_amdhsa_kernel
	.section	.text._ZN9rocsparseL22gebsrmvn_mxn_16_kernelILj45ELj9ELj5EfEEvi20rocsparse_direction_NS_24const_host_device_scalarIT2_EEPKiS6_PKS3_iiS8_S4_PS3_21rocsparse_index_base_b,"axG",@progbits,_ZN9rocsparseL22gebsrmvn_mxn_16_kernelILj45ELj9ELj5EfEEvi20rocsparse_direction_NS_24const_host_device_scalarIT2_EEPKiS6_PKS3_iiS8_S4_PS3_21rocsparse_index_base_b,comdat
.Lfunc_end4:
	.size	_ZN9rocsparseL22gebsrmvn_mxn_16_kernelILj45ELj9ELj5EfEEvi20rocsparse_direction_NS_24const_host_device_scalarIT2_EEPKiS6_PKS3_iiS8_S4_PS3_21rocsparse_index_base_b, .Lfunc_end4-_ZN9rocsparseL22gebsrmvn_mxn_16_kernelILj45ELj9ELj5EfEEvi20rocsparse_direction_NS_24const_host_device_scalarIT2_EEPKiS6_PKS3_iiS8_S4_PS3_21rocsparse_index_base_b
                                        ; -- End function
	.set _ZN9rocsparseL22gebsrmvn_mxn_16_kernelILj45ELj9ELj5EfEEvi20rocsparse_direction_NS_24const_host_device_scalarIT2_EEPKiS6_PKS3_iiS8_S4_PS3_21rocsparse_index_base_b.num_vgpr, 13
	.set _ZN9rocsparseL22gebsrmvn_mxn_16_kernelILj45ELj9ELj5EfEEvi20rocsparse_direction_NS_24const_host_device_scalarIT2_EEPKiS6_PKS3_iiS8_S4_PS3_21rocsparse_index_base_b.num_agpr, 0
	.set _ZN9rocsparseL22gebsrmvn_mxn_16_kernelILj45ELj9ELj5EfEEvi20rocsparse_direction_NS_24const_host_device_scalarIT2_EEPKiS6_PKS3_iiS8_S4_PS3_21rocsparse_index_base_b.numbered_sgpr, 22
	.set _ZN9rocsparseL22gebsrmvn_mxn_16_kernelILj45ELj9ELj5EfEEvi20rocsparse_direction_NS_24const_host_device_scalarIT2_EEPKiS6_PKS3_iiS8_S4_PS3_21rocsparse_index_base_b.num_named_barrier, 0
	.set _ZN9rocsparseL22gebsrmvn_mxn_16_kernelILj45ELj9ELj5EfEEvi20rocsparse_direction_NS_24const_host_device_scalarIT2_EEPKiS6_PKS3_iiS8_S4_PS3_21rocsparse_index_base_b.private_seg_size, 0
	.set _ZN9rocsparseL22gebsrmvn_mxn_16_kernelILj45ELj9ELj5EfEEvi20rocsparse_direction_NS_24const_host_device_scalarIT2_EEPKiS6_PKS3_iiS8_S4_PS3_21rocsparse_index_base_b.uses_vcc, 1
	.set _ZN9rocsparseL22gebsrmvn_mxn_16_kernelILj45ELj9ELj5EfEEvi20rocsparse_direction_NS_24const_host_device_scalarIT2_EEPKiS6_PKS3_iiS8_S4_PS3_21rocsparse_index_base_b.uses_flat_scratch, 0
	.set _ZN9rocsparseL22gebsrmvn_mxn_16_kernelILj45ELj9ELj5EfEEvi20rocsparse_direction_NS_24const_host_device_scalarIT2_EEPKiS6_PKS3_iiS8_S4_PS3_21rocsparse_index_base_b.has_dyn_sized_stack, 0
	.set _ZN9rocsparseL22gebsrmvn_mxn_16_kernelILj45ELj9ELj5EfEEvi20rocsparse_direction_NS_24const_host_device_scalarIT2_EEPKiS6_PKS3_iiS8_S4_PS3_21rocsparse_index_base_b.has_recursion, 0
	.set _ZN9rocsparseL22gebsrmvn_mxn_16_kernelILj45ELj9ELj5EfEEvi20rocsparse_direction_NS_24const_host_device_scalarIT2_EEPKiS6_PKS3_iiS8_S4_PS3_21rocsparse_index_base_b.has_indirect_call, 0
	.section	.AMDGPU.csdata,"",@progbits
; Kernel info:
; codeLenInByte = 1008
; TotalNumSgprs: 26
; NumVgprs: 13
; ScratchSize: 0
; MemoryBound: 0
; FloatMode: 240
; IeeeMode: 1
; LDSByteSize: 180 bytes/workgroup (compile time only)
; SGPRBlocks: 3
; VGPRBlocks: 3
; NumSGPRsForWavesPerEU: 26
; NumVGPRsForWavesPerEU: 13
; Occupancy: 10
; WaveLimiterHint : 1
; COMPUTE_PGM_RSRC2:SCRATCH_EN: 0
; COMPUTE_PGM_RSRC2:USER_SGPR: 6
; COMPUTE_PGM_RSRC2:TRAP_HANDLER: 0
; COMPUTE_PGM_RSRC2:TGID_X_EN: 1
; COMPUTE_PGM_RSRC2:TGID_Y_EN: 0
; COMPUTE_PGM_RSRC2:TGID_Z_EN: 0
; COMPUTE_PGM_RSRC2:TIDIG_COMP_CNT: 0
	.section	.text._ZN9rocsparseL22gebsrmvn_mxn_16_kernelILj54ELj9ELj6EfEEvi20rocsparse_direction_NS_24const_host_device_scalarIT2_EEPKiS6_PKS3_iiS8_S4_PS3_21rocsparse_index_base_b,"axG",@progbits,_ZN9rocsparseL22gebsrmvn_mxn_16_kernelILj54ELj9ELj6EfEEvi20rocsparse_direction_NS_24const_host_device_scalarIT2_EEPKiS6_PKS3_iiS8_S4_PS3_21rocsparse_index_base_b,comdat
	.globl	_ZN9rocsparseL22gebsrmvn_mxn_16_kernelILj54ELj9ELj6EfEEvi20rocsparse_direction_NS_24const_host_device_scalarIT2_EEPKiS6_PKS3_iiS8_S4_PS3_21rocsparse_index_base_b ; -- Begin function _ZN9rocsparseL22gebsrmvn_mxn_16_kernelILj54ELj9ELj6EfEEvi20rocsparse_direction_NS_24const_host_device_scalarIT2_EEPKiS6_PKS3_iiS8_S4_PS3_21rocsparse_index_base_b
	.p2align	8
	.type	_ZN9rocsparseL22gebsrmvn_mxn_16_kernelILj54ELj9ELj6EfEEvi20rocsparse_direction_NS_24const_host_device_scalarIT2_EEPKiS6_PKS3_iiS8_S4_PS3_21rocsparse_index_base_b,@function
_ZN9rocsparseL22gebsrmvn_mxn_16_kernelILj54ELj9ELj6EfEEvi20rocsparse_direction_NS_24const_host_device_scalarIT2_EEPKiS6_PKS3_iiS8_S4_PS3_21rocsparse_index_base_b: ; @_ZN9rocsparseL22gebsrmvn_mxn_16_kernelILj54ELj9ELj6EfEEvi20rocsparse_direction_NS_24const_host_device_scalarIT2_EEPKiS6_PKS3_iiS8_S4_PS3_21rocsparse_index_base_b
; %bb.0:
	s_load_dwordx2 s[14:15], s[4:5], 0x48
	s_load_dwordx2 s[10:11], s[4:5], 0x8
	;; [unrolled: 1-line block ×3, first 2 shown]
	s_waitcnt lgkmcnt(0)
	s_bitcmp1_b32 s15, 0
	s_cselect_b64 s[2:3], -1, 0
	s_xor_b64 s[0:1], s[2:3], -1
	s_and_b64 vcc, exec, s[2:3]
	s_cbranch_vccnz .LBB5_2
; %bb.1:
	s_load_dword s10, s[10:11], 0x0
.LBB5_2:
	s_andn2_b64 vcc, exec, s[0:1]
	s_cbranch_vccnz .LBB5_4
; %bb.3:
	s_load_dword s8, s[8:9], 0x0
.LBB5_4:
	s_waitcnt lgkmcnt(0)
	v_cmp_eq_f32_e64 s[0:1], s10, 0
	v_cmp_eq_f32_e64 s[2:3], s8, 1.0
	s_and_b64 s[0:1], s[0:1], s[2:3]
	s_and_b64 vcc, exec, s[0:1]
	s_cbranch_vccnz .LBB5_36
; %bb.5:
	s_load_dwordx2 s[0:1], s[4:5], 0x10
	s_load_dword s2, s[4:5], 0x4
	v_mul_u32_u24_e32 v1, 0x2aab, v0
	v_mov_b32_e32 v2, 6
	v_mul_lo_u16_sdwa v1, v1, v2 dst_sel:DWORD dst_unused:UNUSED_PAD src0_sel:WORD_1 src1_sel:DWORD
	v_sub_u16_e32 v7, v0, v1
	s_waitcnt lgkmcnt(0)
	s_cmp_lg_u32 s2, 1
	s_cselect_b64 s[16:17], -1, 0
	s_and_b64 vcc, exec, s[16:17]
	v_mov_b32_e32 v1, v7
	s_cbranch_vccnz .LBB5_7
; %bb.6:
	s_movk_i32 s2, 0x1c72
	v_mul_u32_u24_sdwa v1, v0, s2 dst_sel:DWORD dst_unused:UNUSED_PAD src0_sel:WORD_0 src1_sel:DWORD
	v_mov_b32_e32 v3, 43
	v_mul_lo_u16_sdwa v3, v1, v3 dst_sel:DWORD dst_unused:UNUSED_PAD src0_sel:WORD_1 src1_sel:DWORD
	v_mul_lo_u16_sdwa v2, v3, v2 dst_sel:DWORD dst_unused:UNUSED_PAD src0_sel:BYTE_1 src1_sel:DWORD
	v_sub_u16_sdwa v1, v1, v2 dst_sel:DWORD dst_unused:UNUSED_PAD src0_sel:WORD_1 src1_sel:DWORD
	v_and_b32_e32 v1, 0xff, v1
.LBB5_7:
	s_ashr_i32 s7, s6, 31
	s_lshl_b64 s[2:3], s[6:7], 2
	s_add_u32 s0, s0, s2
	s_addc_u32 s1, s1, s3
	s_load_dwordx2 s[20:21], s[0:1], 0x0
	s_load_dwordx2 s[12:13], s[4:5], 0x40
	v_mov_b32_e32 v6, 0
	s_waitcnt lgkmcnt(0)
	s_cmp_ge_i32 s20, s21
	s_cbranch_scc1 .LBB5_12
; %bb.8:
	s_load_dwordx4 s[0:3], s[4:5], 0x18
	s_load_dwordx2 s[18:19], s[4:5], 0x30
	v_mad_u64_u32 v[2:3], s[4:5], s20, 54, v[0:1]
	s_movk_i32 s4, 0x4be
	v_mul_u32_u24_sdwa v8, v0, s4 dst_sel:DWORD dst_unused:UNUSED_PAD src0_sel:WORD_0 src1_sel:DWORD
	s_mul_i32 s4, s14, 54
	v_mov_b32_e32 v3, 0
	s_sub_i32 s7, s21, s14
	s_sub_i32 s9, s20, s14
	v_subrev_u32_e32 v2, s4, v2
	v_mov_b32_e32 v6, v3
	s_branch .LBB5_10
.LBB5_9:                                ;   in Loop: Header=BB5_10 Depth=1
	s_or_b64 exec, exec, s[4:5]
	s_add_i32 s9, s9, 1
	s_cmp_ge_i32 s9, s7
	v_add_u32_e32 v2, 54, v2
	s_cbranch_scc1 .LBB5_12
.LBB5_10:                               ; =>This Inner Loop Header: Depth=1
	v_add_u32_sdwa v4, v8, s9 dst_sel:DWORD dst_unused:UNUSED_PAD src0_sel:WORD_1 src1_sel:DWORD
	v_cmp_gt_i32_e32 vcc, s7, v4
	s_and_saveexec_b64 s[4:5], vcc
	s_cbranch_execz .LBB5_9
; %bb.11:                               ;   in Loop: Header=BB5_10 Depth=1
	v_ashrrev_i32_e32 v5, 31, v4
	v_lshlrev_b64 v[4:5], 2, v[4:5]
	s_waitcnt lgkmcnt(0)
	v_mov_b32_e32 v9, s1
	v_add_co_u32_e32 v4, vcc, s0, v4
	v_addc_co_u32_e32 v5, vcc, v9, v5, vcc
	global_load_dword v9, v[4:5], off
	v_lshlrev_b64 v[4:5], 2, v[2:3]
	v_mov_b32_e32 v11, s3
	v_add_co_u32_e32 v4, vcc, s2, v4
	v_addc_co_u32_e32 v5, vcc, v11, v5, vcc
	global_load_dword v11, v[4:5], off
	v_mov_b32_e32 v12, s19
	s_waitcnt vmcnt(1)
	v_subrev_u32_e32 v9, s14, v9
	v_mad_u64_u32 v[9:10], s[20:21], v9, 6, v[1:2]
	v_ashrrev_i32_e32 v10, 31, v9
	v_lshlrev_b64 v[4:5], 2, v[9:10]
	v_add_co_u32_e32 v4, vcc, s18, v4
	v_addc_co_u32_e32 v5, vcc, v12, v5, vcc
	global_load_dword v4, v[4:5], off
	s_waitcnt vmcnt(0)
	v_fmac_f32_e32 v6, v11, v4
	s_branch .LBB5_9
.LBB5_12:
	v_lshlrev_b32_e32 v1, 2, v0
	s_and_b64 vcc, exec, s[16:17]
	ds_write_b32 v1, v6
	s_waitcnt lgkmcnt(0)
	; wave barrier
	s_cbranch_vccz .LBB5_22
; %bb.13:
	v_cmp_gt_u16_e32 vcc, 2, v7
	s_and_saveexec_b64 s[0:1], vcc
	s_cbranch_execz .LBB5_15
; %bb.14:
	ds_read2_b32 v[2:3], v1 offset1:4
	s_waitcnt lgkmcnt(0)
	v_add_f32_e32 v2, v3, v2
	ds_write_b32 v1, v2
.LBB5_15:
	s_or_b64 exec, exec, s[0:1]
	s_waitcnt lgkmcnt(0)
	; wave barrier
	s_and_saveexec_b64 s[0:1], vcc
	s_cbranch_execz .LBB5_17
; %bb.16:
	ds_read2_b32 v[2:3], v1 offset1:2
	s_waitcnt lgkmcnt(0)
	v_add_f32_e32 v2, v3, v2
	ds_write_b32 v1, v2
.LBB5_17:
	s_or_b64 exec, exec, s[0:1]
	v_cmp_eq_u16_e32 vcc, 0, v7
	s_waitcnt lgkmcnt(0)
	; wave barrier
	s_and_saveexec_b64 s[0:1], vcc
	s_cbranch_execz .LBB5_19
; %bb.18:
	ds_read2_b32 v[2:3], v1 offset1:1
	s_waitcnt lgkmcnt(0)
	v_add_f32_e32 v2, v3, v2
	ds_write_b32 v1, v2
.LBB5_19:
	s_or_b64 exec, exec, s[0:1]
	v_cmp_gt_u32_e32 vcc, 9, v0
	v_mov_b32_e32 v2, v6
	s_waitcnt lgkmcnt(0)
	; wave barrier
	s_and_saveexec_b64 s[0:1], vcc
; %bb.20:
	v_mad_u32_u24 v2, v0, 20, v1
	ds_read_b32 v2, v2
; %bb.21:
	s_or_b64 exec, exec, s[0:1]
	s_branch .LBB5_32
.LBB5_22:
                                        ; implicit-def: $vgpr2
	s_cbranch_execz .LBB5_32
; %bb.23:
	v_cmp_gt_u32_e32 vcc, 18, v0
	s_and_saveexec_b64 s[0:1], vcc
	s_cbranch_execz .LBB5_25
; %bb.24:
	s_waitcnt lgkmcnt(0)
	ds_read2_b32 v[2:3], v1 offset1:36
	s_waitcnt lgkmcnt(0)
	v_add_f32_e32 v2, v3, v2
	ds_write_b32 v1, v2
.LBB5_25:
	s_or_b64 exec, exec, s[0:1]
	s_waitcnt lgkmcnt(0)
	; wave barrier
	s_and_saveexec_b64 s[0:1], vcc
	s_cbranch_execz .LBB5_27
; %bb.26:
	ds_read2_b32 v[2:3], v1 offset1:18
	s_waitcnt lgkmcnt(0)
	v_add_f32_e32 v2, v3, v2
	ds_write_b32 v1, v2
.LBB5_27:
	s_or_b64 exec, exec, s[0:1]
	v_cmp_lt_u32_e32 vcc, 8, v0
	s_waitcnt lgkmcnt(0)
	s_and_saveexec_b64 s[0:1], vcc
	s_xor_b64 s[0:1], exec, s[0:1]
; %bb.28:
                                        ; implicit-def: $vgpr1
; %bb.29:
	s_andn2_saveexec_b64 s[0:1], s[0:1]
	s_cbranch_execz .LBB5_31
; %bb.30:
	ds_read2_b32 v[2:3], v1 offset1:9
	s_waitcnt lgkmcnt(0)
	v_add_f32_e32 v2, v3, v2
	ds_write_b32 v1, v2
	s_waitcnt lgkmcnt(0)
	ds_read_b32 v6, v1
.LBB5_31:
	s_or_b64 exec, exec, s[0:1]
	s_waitcnt lgkmcnt(0)
	v_mov_b32_e32 v2, v6
.LBB5_32:
	v_cmp_gt_u32_e32 vcc, 9, v0
	s_and_saveexec_b64 s[0:1], vcc
	s_cbranch_execz .LBB5_36
; %bb.33:
	v_cmp_eq_f32_e64 s[0:1], s8, 0
	s_and_b64 vcc, exec, s[0:1]
	s_waitcnt lgkmcnt(0)
	v_mul_f32_e32 v1, s10, v2
	s_cbranch_vccz .LBB5_37
; %bb.34:
	v_mad_u64_u32 v[2:3], s[0:1], s6, 9, v[0:1]
	v_mov_b32_e32 v3, 0
	v_mov_b32_e32 v4, s13
	v_lshlrev_b64 v[2:3], 2, v[2:3]
	v_add_co_u32_e32 v2, vcc, s12, v2
	v_addc_co_u32_e32 v3, vcc, v4, v3, vcc
	global_store_dword v[2:3], v1, off
	s_cbranch_execnz .LBB5_36
.LBB5_35:
	v_mad_u64_u32 v[2:3], s[0:1], s6, 9, v[0:1]
	v_mov_b32_e32 v3, 0
	v_mov_b32_e32 v0, s13
	v_lshlrev_b64 v[2:3], 2, v[2:3]
	v_add_co_u32_e32 v2, vcc, s12, v2
	v_addc_co_u32_e32 v3, vcc, v0, v3, vcc
	global_load_dword v0, v[2:3], off
	s_waitcnt vmcnt(0)
	v_fmac_f32_e32 v1, s8, v0
	global_store_dword v[2:3], v1, off
.LBB5_36:
	s_endpgm
.LBB5_37:
	s_branch .LBB5_35
	.section	.rodata,"a",@progbits
	.p2align	6, 0x0
	.amdhsa_kernel _ZN9rocsparseL22gebsrmvn_mxn_16_kernelILj54ELj9ELj6EfEEvi20rocsparse_direction_NS_24const_host_device_scalarIT2_EEPKiS6_PKS3_iiS8_S4_PS3_21rocsparse_index_base_b
		.amdhsa_group_segment_fixed_size 216
		.amdhsa_private_segment_fixed_size 0
		.amdhsa_kernarg_size 80
		.amdhsa_user_sgpr_count 6
		.amdhsa_user_sgpr_private_segment_buffer 1
		.amdhsa_user_sgpr_dispatch_ptr 0
		.amdhsa_user_sgpr_queue_ptr 0
		.amdhsa_user_sgpr_kernarg_segment_ptr 1
		.amdhsa_user_sgpr_dispatch_id 0
		.amdhsa_user_sgpr_flat_scratch_init 0
		.amdhsa_user_sgpr_private_segment_size 0
		.amdhsa_uses_dynamic_stack 0
		.amdhsa_system_sgpr_private_segment_wavefront_offset 0
		.amdhsa_system_sgpr_workgroup_id_x 1
		.amdhsa_system_sgpr_workgroup_id_y 0
		.amdhsa_system_sgpr_workgroup_id_z 0
		.amdhsa_system_sgpr_workgroup_info 0
		.amdhsa_system_vgpr_workitem_id 0
		.amdhsa_next_free_vgpr 13
		.amdhsa_next_free_sgpr 22
		.amdhsa_reserve_vcc 1
		.amdhsa_reserve_flat_scratch 0
		.amdhsa_float_round_mode_32 0
		.amdhsa_float_round_mode_16_64 0
		.amdhsa_float_denorm_mode_32 3
		.amdhsa_float_denorm_mode_16_64 3
		.amdhsa_dx10_clamp 1
		.amdhsa_ieee_mode 1
		.amdhsa_fp16_overflow 0
		.amdhsa_exception_fp_ieee_invalid_op 0
		.amdhsa_exception_fp_denorm_src 0
		.amdhsa_exception_fp_ieee_div_zero 0
		.amdhsa_exception_fp_ieee_overflow 0
		.amdhsa_exception_fp_ieee_underflow 0
		.amdhsa_exception_fp_ieee_inexact 0
		.amdhsa_exception_int_div_zero 0
	.end_amdhsa_kernel
	.section	.text._ZN9rocsparseL22gebsrmvn_mxn_16_kernelILj54ELj9ELj6EfEEvi20rocsparse_direction_NS_24const_host_device_scalarIT2_EEPKiS6_PKS3_iiS8_S4_PS3_21rocsparse_index_base_b,"axG",@progbits,_ZN9rocsparseL22gebsrmvn_mxn_16_kernelILj54ELj9ELj6EfEEvi20rocsparse_direction_NS_24const_host_device_scalarIT2_EEPKiS6_PKS3_iiS8_S4_PS3_21rocsparse_index_base_b,comdat
.Lfunc_end5:
	.size	_ZN9rocsparseL22gebsrmvn_mxn_16_kernelILj54ELj9ELj6EfEEvi20rocsparse_direction_NS_24const_host_device_scalarIT2_EEPKiS6_PKS3_iiS8_S4_PS3_21rocsparse_index_base_b, .Lfunc_end5-_ZN9rocsparseL22gebsrmvn_mxn_16_kernelILj54ELj9ELj6EfEEvi20rocsparse_direction_NS_24const_host_device_scalarIT2_EEPKiS6_PKS3_iiS8_S4_PS3_21rocsparse_index_base_b
                                        ; -- End function
	.set _ZN9rocsparseL22gebsrmvn_mxn_16_kernelILj54ELj9ELj6EfEEvi20rocsparse_direction_NS_24const_host_device_scalarIT2_EEPKiS6_PKS3_iiS8_S4_PS3_21rocsparse_index_base_b.num_vgpr, 13
	.set _ZN9rocsparseL22gebsrmvn_mxn_16_kernelILj54ELj9ELj6EfEEvi20rocsparse_direction_NS_24const_host_device_scalarIT2_EEPKiS6_PKS3_iiS8_S4_PS3_21rocsparse_index_base_b.num_agpr, 0
	.set _ZN9rocsparseL22gebsrmvn_mxn_16_kernelILj54ELj9ELj6EfEEvi20rocsparse_direction_NS_24const_host_device_scalarIT2_EEPKiS6_PKS3_iiS8_S4_PS3_21rocsparse_index_base_b.numbered_sgpr, 22
	.set _ZN9rocsparseL22gebsrmvn_mxn_16_kernelILj54ELj9ELj6EfEEvi20rocsparse_direction_NS_24const_host_device_scalarIT2_EEPKiS6_PKS3_iiS8_S4_PS3_21rocsparse_index_base_b.num_named_barrier, 0
	.set _ZN9rocsparseL22gebsrmvn_mxn_16_kernelILj54ELj9ELj6EfEEvi20rocsparse_direction_NS_24const_host_device_scalarIT2_EEPKiS6_PKS3_iiS8_S4_PS3_21rocsparse_index_base_b.private_seg_size, 0
	.set _ZN9rocsparseL22gebsrmvn_mxn_16_kernelILj54ELj9ELj6EfEEvi20rocsparse_direction_NS_24const_host_device_scalarIT2_EEPKiS6_PKS3_iiS8_S4_PS3_21rocsparse_index_base_b.uses_vcc, 1
	.set _ZN9rocsparseL22gebsrmvn_mxn_16_kernelILj54ELj9ELj6EfEEvi20rocsparse_direction_NS_24const_host_device_scalarIT2_EEPKiS6_PKS3_iiS8_S4_PS3_21rocsparse_index_base_b.uses_flat_scratch, 0
	.set _ZN9rocsparseL22gebsrmvn_mxn_16_kernelILj54ELj9ELj6EfEEvi20rocsparse_direction_NS_24const_host_device_scalarIT2_EEPKiS6_PKS3_iiS8_S4_PS3_21rocsparse_index_base_b.has_dyn_sized_stack, 0
	.set _ZN9rocsparseL22gebsrmvn_mxn_16_kernelILj54ELj9ELj6EfEEvi20rocsparse_direction_NS_24const_host_device_scalarIT2_EEPKiS6_PKS3_iiS8_S4_PS3_21rocsparse_index_base_b.has_recursion, 0
	.set _ZN9rocsparseL22gebsrmvn_mxn_16_kernelILj54ELj9ELj6EfEEvi20rocsparse_direction_NS_24const_host_device_scalarIT2_EEPKiS6_PKS3_iiS8_S4_PS3_21rocsparse_index_base_b.has_indirect_call, 0
	.section	.AMDGPU.csdata,"",@progbits
; Kernel info:
; codeLenInByte = 984
; TotalNumSgprs: 26
; NumVgprs: 13
; ScratchSize: 0
; MemoryBound: 0
; FloatMode: 240
; IeeeMode: 1
; LDSByteSize: 216 bytes/workgroup (compile time only)
; SGPRBlocks: 3
; VGPRBlocks: 3
; NumSGPRsForWavesPerEU: 26
; NumVGPRsForWavesPerEU: 13
; Occupancy: 10
; WaveLimiterHint : 1
; COMPUTE_PGM_RSRC2:SCRATCH_EN: 0
; COMPUTE_PGM_RSRC2:USER_SGPR: 6
; COMPUTE_PGM_RSRC2:TRAP_HANDLER: 0
; COMPUTE_PGM_RSRC2:TGID_X_EN: 1
; COMPUTE_PGM_RSRC2:TGID_Y_EN: 0
; COMPUTE_PGM_RSRC2:TGID_Z_EN: 0
; COMPUTE_PGM_RSRC2:TIDIG_COMP_CNT: 0
	.section	.text._ZN9rocsparseL22gebsrmvn_mxn_16_kernelILj63ELj9ELj7EfEEvi20rocsparse_direction_NS_24const_host_device_scalarIT2_EEPKiS6_PKS3_iiS8_S4_PS3_21rocsparse_index_base_b,"axG",@progbits,_ZN9rocsparseL22gebsrmvn_mxn_16_kernelILj63ELj9ELj7EfEEvi20rocsparse_direction_NS_24const_host_device_scalarIT2_EEPKiS6_PKS3_iiS8_S4_PS3_21rocsparse_index_base_b,comdat
	.globl	_ZN9rocsparseL22gebsrmvn_mxn_16_kernelILj63ELj9ELj7EfEEvi20rocsparse_direction_NS_24const_host_device_scalarIT2_EEPKiS6_PKS3_iiS8_S4_PS3_21rocsparse_index_base_b ; -- Begin function _ZN9rocsparseL22gebsrmvn_mxn_16_kernelILj63ELj9ELj7EfEEvi20rocsparse_direction_NS_24const_host_device_scalarIT2_EEPKiS6_PKS3_iiS8_S4_PS3_21rocsparse_index_base_b
	.p2align	8
	.type	_ZN9rocsparseL22gebsrmvn_mxn_16_kernelILj63ELj9ELj7EfEEvi20rocsparse_direction_NS_24const_host_device_scalarIT2_EEPKiS6_PKS3_iiS8_S4_PS3_21rocsparse_index_base_b,@function
_ZN9rocsparseL22gebsrmvn_mxn_16_kernelILj63ELj9ELj7EfEEvi20rocsparse_direction_NS_24const_host_device_scalarIT2_EEPKiS6_PKS3_iiS8_S4_PS3_21rocsparse_index_base_b: ; @_ZN9rocsparseL22gebsrmvn_mxn_16_kernelILj63ELj9ELj7EfEEvi20rocsparse_direction_NS_24const_host_device_scalarIT2_EEPKiS6_PKS3_iiS8_S4_PS3_21rocsparse_index_base_b
; %bb.0:
	s_load_dwordx2 s[14:15], s[4:5], 0x48
	s_load_dwordx2 s[10:11], s[4:5], 0x8
	;; [unrolled: 1-line block ×3, first 2 shown]
	s_waitcnt lgkmcnt(0)
	s_bitcmp1_b32 s15, 0
	s_cselect_b64 s[2:3], -1, 0
	s_xor_b64 s[0:1], s[2:3], -1
	s_and_b64 vcc, exec, s[2:3]
	s_cbranch_vccnz .LBB6_2
; %bb.1:
	s_load_dword s10, s[10:11], 0x0
.LBB6_2:
	s_andn2_b64 vcc, exec, s[0:1]
	s_cbranch_vccnz .LBB6_4
; %bb.3:
	s_load_dword s8, s[8:9], 0x0
.LBB6_4:
	s_waitcnt lgkmcnt(0)
	v_cmp_eq_f32_e64 s[0:1], s10, 0
	v_cmp_eq_f32_e64 s[2:3], s8, 1.0
	s_and_b64 s[0:1], s[0:1], s[2:3]
	s_and_b64 vcc, exec, s[0:1]
	s_cbranch_vccnz .LBB6_36
; %bb.5:
	s_load_dwordx2 s[0:1], s[4:5], 0x10
	s_load_dword s2, s[4:5], 0x4
	v_mul_u32_u24_e32 v1, 0x2493, v0
	v_mov_b32_e32 v2, 7
	v_mul_lo_u16_sdwa v1, v1, v2 dst_sel:DWORD dst_unused:UNUSED_PAD src0_sel:WORD_1 src1_sel:DWORD
	v_sub_u16_e32 v7, v0, v1
	s_waitcnt lgkmcnt(0)
	s_cmp_lg_u32 s2, 1
	s_cselect_b64 s[16:17], -1, 0
	s_and_b64 vcc, exec, s[16:17]
	v_mov_b32_e32 v1, v7
	s_cbranch_vccnz .LBB6_7
; %bb.6:
	s_movk_i32 s2, 0x1c72
	v_mul_u32_u24_sdwa v1, v0, s2 dst_sel:DWORD dst_unused:UNUSED_PAD src0_sel:WORD_0 src1_sel:DWORD
	v_mov_b32_e32 v3, 37
	v_mul_lo_u16_sdwa v3, v1, v3 dst_sel:DWORD dst_unused:UNUSED_PAD src0_sel:WORD_1 src1_sel:DWORD
	v_mul_lo_u16_sdwa v2, v3, v2 dst_sel:DWORD dst_unused:UNUSED_PAD src0_sel:BYTE_1 src1_sel:DWORD
	v_sub_u16_sdwa v1, v1, v2 dst_sel:DWORD dst_unused:UNUSED_PAD src0_sel:WORD_1 src1_sel:DWORD
	v_and_b32_e32 v1, 0xff, v1
.LBB6_7:
	s_ashr_i32 s7, s6, 31
	s_lshl_b64 s[2:3], s[6:7], 2
	s_add_u32 s0, s0, s2
	s_addc_u32 s1, s1, s3
	s_load_dwordx2 s[20:21], s[0:1], 0x0
	s_load_dwordx2 s[12:13], s[4:5], 0x40
	v_mov_b32_e32 v6, 0
	s_waitcnt lgkmcnt(0)
	s_cmp_ge_i32 s20, s21
	s_cbranch_scc1 .LBB6_12
; %bb.8:
	s_load_dwordx4 s[0:3], s[4:5], 0x18
	s_load_dwordx2 s[18:19], s[4:5], 0x30
	v_mad_u64_u32 v[2:3], s[4:5], s20, 63, v[0:1]
	s_movk_i32 s4, 0x411
	v_mul_u32_u24_sdwa v8, v0, s4 dst_sel:DWORD dst_unused:UNUSED_PAD src0_sel:WORD_0 src1_sel:DWORD
	s_mul_i32 s4, s14, 63
	v_mov_b32_e32 v3, 0
	s_sub_i32 s7, s21, s14
	s_sub_i32 s9, s20, s14
	v_subrev_u32_e32 v2, s4, v2
	v_mov_b32_e32 v6, v3
	s_branch .LBB6_10
.LBB6_9:                                ;   in Loop: Header=BB6_10 Depth=1
	s_or_b64 exec, exec, s[4:5]
	s_add_i32 s9, s9, 1
	s_cmp_ge_i32 s9, s7
	v_add_u32_e32 v2, 63, v2
	s_cbranch_scc1 .LBB6_12
.LBB6_10:                               ; =>This Inner Loop Header: Depth=1
	v_add_u32_sdwa v4, v8, s9 dst_sel:DWORD dst_unused:UNUSED_PAD src0_sel:WORD_1 src1_sel:DWORD
	v_cmp_gt_i32_e32 vcc, s7, v4
	s_and_saveexec_b64 s[4:5], vcc
	s_cbranch_execz .LBB6_9
; %bb.11:                               ;   in Loop: Header=BB6_10 Depth=1
	v_ashrrev_i32_e32 v5, 31, v4
	v_lshlrev_b64 v[4:5], 2, v[4:5]
	s_waitcnt lgkmcnt(0)
	v_mov_b32_e32 v9, s1
	v_add_co_u32_e32 v4, vcc, s0, v4
	v_addc_co_u32_e32 v5, vcc, v9, v5, vcc
	global_load_dword v9, v[4:5], off
	v_lshlrev_b64 v[4:5], 2, v[2:3]
	v_mov_b32_e32 v11, s3
	v_add_co_u32_e32 v4, vcc, s2, v4
	v_addc_co_u32_e32 v5, vcc, v11, v5, vcc
	global_load_dword v11, v[4:5], off
	v_mov_b32_e32 v12, s19
	s_waitcnt vmcnt(1)
	v_subrev_u32_e32 v9, s14, v9
	v_mad_u64_u32 v[9:10], s[20:21], v9, 7, v[1:2]
	v_ashrrev_i32_e32 v10, 31, v9
	v_lshlrev_b64 v[4:5], 2, v[9:10]
	v_add_co_u32_e32 v4, vcc, s18, v4
	v_addc_co_u32_e32 v5, vcc, v12, v5, vcc
	global_load_dword v4, v[4:5], off
	s_waitcnt vmcnt(0)
	v_fmac_f32_e32 v6, v11, v4
	s_branch .LBB6_9
.LBB6_12:
	v_lshlrev_b32_e32 v1, 2, v0
	s_and_b64 vcc, exec, s[16:17]
	ds_write_b32 v1, v6
	s_waitcnt lgkmcnt(0)
	; wave barrier
	s_cbranch_vccz .LBB6_22
; %bb.13:
	v_cmp_gt_u16_e32 vcc, 3, v7
	s_and_saveexec_b64 s[0:1], vcc
	s_cbranch_execz .LBB6_15
; %bb.14:
	ds_read2_b32 v[2:3], v1 offset1:4
	s_waitcnt lgkmcnt(0)
	v_add_f32_e32 v2, v3, v2
	ds_write_b32 v1, v2
.LBB6_15:
	s_or_b64 exec, exec, s[0:1]
	v_cmp_gt_u16_e32 vcc, 2, v7
	s_waitcnt lgkmcnt(0)
	; wave barrier
	s_and_saveexec_b64 s[0:1], vcc
	s_cbranch_execz .LBB6_17
; %bb.16:
	ds_read2_b32 v[2:3], v1 offset1:2
	s_waitcnt lgkmcnt(0)
	v_add_f32_e32 v2, v3, v2
	ds_write_b32 v1, v2
.LBB6_17:
	s_or_b64 exec, exec, s[0:1]
	v_cmp_eq_u16_e32 vcc, 0, v7
	s_waitcnt lgkmcnt(0)
	; wave barrier
	s_and_saveexec_b64 s[0:1], vcc
	s_cbranch_execz .LBB6_19
; %bb.18:
	ds_read2_b32 v[2:3], v1 offset1:1
	s_waitcnt lgkmcnt(0)
	v_add_f32_e32 v2, v3, v2
	ds_write_b32 v1, v2
.LBB6_19:
	s_or_b64 exec, exec, s[0:1]
	v_cmp_gt_u32_e32 vcc, 9, v0
	v_mov_b32_e32 v2, v6
	s_waitcnt lgkmcnt(0)
	; wave barrier
	s_and_saveexec_b64 s[0:1], vcc
; %bb.20:
	v_mad_u32_u24 v2, v0, 24, v1
	ds_read_b32 v2, v2
; %bb.21:
	s_or_b64 exec, exec, s[0:1]
	s_branch .LBB6_32
.LBB6_22:
                                        ; implicit-def: $vgpr2
	s_cbranch_execz .LBB6_32
; %bb.23:
	v_cmp_gt_u32_e32 vcc, 27, v0
	s_and_saveexec_b64 s[0:1], vcc
	s_cbranch_execz .LBB6_25
; %bb.24:
	s_waitcnt lgkmcnt(0)
	ds_read2_b32 v[2:3], v1 offset1:36
	s_waitcnt lgkmcnt(0)
	v_add_f32_e32 v2, v3, v2
	ds_write_b32 v1, v2
.LBB6_25:
	s_or_b64 exec, exec, s[0:1]
	v_cmp_gt_u32_e32 vcc, 18, v0
	s_waitcnt lgkmcnt(0)
	; wave barrier
	s_and_saveexec_b64 s[0:1], vcc
	s_cbranch_execz .LBB6_27
; %bb.26:
	ds_read2_b32 v[2:3], v1 offset1:18
	s_waitcnt lgkmcnt(0)
	v_add_f32_e32 v2, v3, v2
	ds_write_b32 v1, v2
.LBB6_27:
	s_or_b64 exec, exec, s[0:1]
	v_cmp_lt_u32_e32 vcc, 8, v0
	s_waitcnt lgkmcnt(0)
	s_and_saveexec_b64 s[0:1], vcc
	s_xor_b64 s[0:1], exec, s[0:1]
; %bb.28:
                                        ; implicit-def: $vgpr1
; %bb.29:
	s_andn2_saveexec_b64 s[0:1], s[0:1]
	s_cbranch_execz .LBB6_31
; %bb.30:
	ds_read2_b32 v[2:3], v1 offset1:9
	s_waitcnt lgkmcnt(0)
	v_add_f32_e32 v2, v3, v2
	ds_write_b32 v1, v2
	s_waitcnt lgkmcnt(0)
	ds_read_b32 v6, v1
.LBB6_31:
	s_or_b64 exec, exec, s[0:1]
	s_waitcnt lgkmcnt(0)
	v_mov_b32_e32 v2, v6
.LBB6_32:
	v_cmp_gt_u32_e32 vcc, 9, v0
	s_and_saveexec_b64 s[0:1], vcc
	s_cbranch_execz .LBB6_36
; %bb.33:
	v_cmp_eq_f32_e64 s[0:1], s8, 0
	s_and_b64 vcc, exec, s[0:1]
	s_waitcnt lgkmcnt(0)
	v_mul_f32_e32 v1, s10, v2
	s_cbranch_vccz .LBB6_37
; %bb.34:
	v_mad_u64_u32 v[2:3], s[0:1], s6, 9, v[0:1]
	v_mov_b32_e32 v3, 0
	v_mov_b32_e32 v4, s13
	v_lshlrev_b64 v[2:3], 2, v[2:3]
	v_add_co_u32_e32 v2, vcc, s12, v2
	v_addc_co_u32_e32 v3, vcc, v4, v3, vcc
	global_store_dword v[2:3], v1, off
	s_cbranch_execnz .LBB6_36
.LBB6_35:
	v_mad_u64_u32 v[2:3], s[0:1], s6, 9, v[0:1]
	v_mov_b32_e32 v3, 0
	v_mov_b32_e32 v0, s13
	v_lshlrev_b64 v[2:3], 2, v[2:3]
	v_add_co_u32_e32 v2, vcc, s12, v2
	v_addc_co_u32_e32 v3, vcc, v0, v3, vcc
	global_load_dword v0, v[2:3], off
	s_waitcnt vmcnt(0)
	v_fmac_f32_e32 v1, s8, v0
	global_store_dword v[2:3], v1, off
.LBB6_36:
	s_endpgm
.LBB6_37:
	s_branch .LBB6_35
	.section	.rodata,"a",@progbits
	.p2align	6, 0x0
	.amdhsa_kernel _ZN9rocsparseL22gebsrmvn_mxn_16_kernelILj63ELj9ELj7EfEEvi20rocsparse_direction_NS_24const_host_device_scalarIT2_EEPKiS6_PKS3_iiS8_S4_PS3_21rocsparse_index_base_b
		.amdhsa_group_segment_fixed_size 252
		.amdhsa_private_segment_fixed_size 0
		.amdhsa_kernarg_size 80
		.amdhsa_user_sgpr_count 6
		.amdhsa_user_sgpr_private_segment_buffer 1
		.amdhsa_user_sgpr_dispatch_ptr 0
		.amdhsa_user_sgpr_queue_ptr 0
		.amdhsa_user_sgpr_kernarg_segment_ptr 1
		.amdhsa_user_sgpr_dispatch_id 0
		.amdhsa_user_sgpr_flat_scratch_init 0
		.amdhsa_user_sgpr_private_segment_size 0
		.amdhsa_uses_dynamic_stack 0
		.amdhsa_system_sgpr_private_segment_wavefront_offset 0
		.amdhsa_system_sgpr_workgroup_id_x 1
		.amdhsa_system_sgpr_workgroup_id_y 0
		.amdhsa_system_sgpr_workgroup_id_z 0
		.amdhsa_system_sgpr_workgroup_info 0
		.amdhsa_system_vgpr_workitem_id 0
		.amdhsa_next_free_vgpr 13
		.amdhsa_next_free_sgpr 22
		.amdhsa_reserve_vcc 1
		.amdhsa_reserve_flat_scratch 0
		.amdhsa_float_round_mode_32 0
		.amdhsa_float_round_mode_16_64 0
		.amdhsa_float_denorm_mode_32 3
		.amdhsa_float_denorm_mode_16_64 3
		.amdhsa_dx10_clamp 1
		.amdhsa_ieee_mode 1
		.amdhsa_fp16_overflow 0
		.amdhsa_exception_fp_ieee_invalid_op 0
		.amdhsa_exception_fp_denorm_src 0
		.amdhsa_exception_fp_ieee_div_zero 0
		.amdhsa_exception_fp_ieee_overflow 0
		.amdhsa_exception_fp_ieee_underflow 0
		.amdhsa_exception_fp_ieee_inexact 0
		.amdhsa_exception_int_div_zero 0
	.end_amdhsa_kernel
	.section	.text._ZN9rocsparseL22gebsrmvn_mxn_16_kernelILj63ELj9ELj7EfEEvi20rocsparse_direction_NS_24const_host_device_scalarIT2_EEPKiS6_PKS3_iiS8_S4_PS3_21rocsparse_index_base_b,"axG",@progbits,_ZN9rocsparseL22gebsrmvn_mxn_16_kernelILj63ELj9ELj7EfEEvi20rocsparse_direction_NS_24const_host_device_scalarIT2_EEPKiS6_PKS3_iiS8_S4_PS3_21rocsparse_index_base_b,comdat
.Lfunc_end6:
	.size	_ZN9rocsparseL22gebsrmvn_mxn_16_kernelILj63ELj9ELj7EfEEvi20rocsparse_direction_NS_24const_host_device_scalarIT2_EEPKiS6_PKS3_iiS8_S4_PS3_21rocsparse_index_base_b, .Lfunc_end6-_ZN9rocsparseL22gebsrmvn_mxn_16_kernelILj63ELj9ELj7EfEEvi20rocsparse_direction_NS_24const_host_device_scalarIT2_EEPKiS6_PKS3_iiS8_S4_PS3_21rocsparse_index_base_b
                                        ; -- End function
	.set _ZN9rocsparseL22gebsrmvn_mxn_16_kernelILj63ELj9ELj7EfEEvi20rocsparse_direction_NS_24const_host_device_scalarIT2_EEPKiS6_PKS3_iiS8_S4_PS3_21rocsparse_index_base_b.num_vgpr, 13
	.set _ZN9rocsparseL22gebsrmvn_mxn_16_kernelILj63ELj9ELj7EfEEvi20rocsparse_direction_NS_24const_host_device_scalarIT2_EEPKiS6_PKS3_iiS8_S4_PS3_21rocsparse_index_base_b.num_agpr, 0
	.set _ZN9rocsparseL22gebsrmvn_mxn_16_kernelILj63ELj9ELj7EfEEvi20rocsparse_direction_NS_24const_host_device_scalarIT2_EEPKiS6_PKS3_iiS8_S4_PS3_21rocsparse_index_base_b.numbered_sgpr, 22
	.set _ZN9rocsparseL22gebsrmvn_mxn_16_kernelILj63ELj9ELj7EfEEvi20rocsparse_direction_NS_24const_host_device_scalarIT2_EEPKiS6_PKS3_iiS8_S4_PS3_21rocsparse_index_base_b.num_named_barrier, 0
	.set _ZN9rocsparseL22gebsrmvn_mxn_16_kernelILj63ELj9ELj7EfEEvi20rocsparse_direction_NS_24const_host_device_scalarIT2_EEPKiS6_PKS3_iiS8_S4_PS3_21rocsparse_index_base_b.private_seg_size, 0
	.set _ZN9rocsparseL22gebsrmvn_mxn_16_kernelILj63ELj9ELj7EfEEvi20rocsparse_direction_NS_24const_host_device_scalarIT2_EEPKiS6_PKS3_iiS8_S4_PS3_21rocsparse_index_base_b.uses_vcc, 1
	.set _ZN9rocsparseL22gebsrmvn_mxn_16_kernelILj63ELj9ELj7EfEEvi20rocsparse_direction_NS_24const_host_device_scalarIT2_EEPKiS6_PKS3_iiS8_S4_PS3_21rocsparse_index_base_b.uses_flat_scratch, 0
	.set _ZN9rocsparseL22gebsrmvn_mxn_16_kernelILj63ELj9ELj7EfEEvi20rocsparse_direction_NS_24const_host_device_scalarIT2_EEPKiS6_PKS3_iiS8_S4_PS3_21rocsparse_index_base_b.has_dyn_sized_stack, 0
	.set _ZN9rocsparseL22gebsrmvn_mxn_16_kernelILj63ELj9ELj7EfEEvi20rocsparse_direction_NS_24const_host_device_scalarIT2_EEPKiS6_PKS3_iiS8_S4_PS3_21rocsparse_index_base_b.has_recursion, 0
	.set _ZN9rocsparseL22gebsrmvn_mxn_16_kernelILj63ELj9ELj7EfEEvi20rocsparse_direction_NS_24const_host_device_scalarIT2_EEPKiS6_PKS3_iiS8_S4_PS3_21rocsparse_index_base_b.has_indirect_call, 0
	.section	.AMDGPU.csdata,"",@progbits
; Kernel info:
; codeLenInByte = 992
; TotalNumSgprs: 26
; NumVgprs: 13
; ScratchSize: 0
; MemoryBound: 0
; FloatMode: 240
; IeeeMode: 1
; LDSByteSize: 252 bytes/workgroup (compile time only)
; SGPRBlocks: 3
; VGPRBlocks: 3
; NumSGPRsForWavesPerEU: 26
; NumVGPRsForWavesPerEU: 13
; Occupancy: 10
; WaveLimiterHint : 1
; COMPUTE_PGM_RSRC2:SCRATCH_EN: 0
; COMPUTE_PGM_RSRC2:USER_SGPR: 6
; COMPUTE_PGM_RSRC2:TRAP_HANDLER: 0
; COMPUTE_PGM_RSRC2:TGID_X_EN: 1
; COMPUTE_PGM_RSRC2:TGID_Y_EN: 0
; COMPUTE_PGM_RSRC2:TGID_Z_EN: 0
; COMPUTE_PGM_RSRC2:TIDIG_COMP_CNT: 0
	.section	.text._ZN9rocsparseL22gebsrmvn_mxn_16_kernelILj72ELj9ELj8EfEEvi20rocsparse_direction_NS_24const_host_device_scalarIT2_EEPKiS6_PKS3_iiS8_S4_PS3_21rocsparse_index_base_b,"axG",@progbits,_ZN9rocsparseL22gebsrmvn_mxn_16_kernelILj72ELj9ELj8EfEEvi20rocsparse_direction_NS_24const_host_device_scalarIT2_EEPKiS6_PKS3_iiS8_S4_PS3_21rocsparse_index_base_b,comdat
	.globl	_ZN9rocsparseL22gebsrmvn_mxn_16_kernelILj72ELj9ELj8EfEEvi20rocsparse_direction_NS_24const_host_device_scalarIT2_EEPKiS6_PKS3_iiS8_S4_PS3_21rocsparse_index_base_b ; -- Begin function _ZN9rocsparseL22gebsrmvn_mxn_16_kernelILj72ELj9ELj8EfEEvi20rocsparse_direction_NS_24const_host_device_scalarIT2_EEPKiS6_PKS3_iiS8_S4_PS3_21rocsparse_index_base_b
	.p2align	8
	.type	_ZN9rocsparseL22gebsrmvn_mxn_16_kernelILj72ELj9ELj8EfEEvi20rocsparse_direction_NS_24const_host_device_scalarIT2_EEPKiS6_PKS3_iiS8_S4_PS3_21rocsparse_index_base_b,@function
_ZN9rocsparseL22gebsrmvn_mxn_16_kernelILj72ELj9ELj8EfEEvi20rocsparse_direction_NS_24const_host_device_scalarIT2_EEPKiS6_PKS3_iiS8_S4_PS3_21rocsparse_index_base_b: ; @_ZN9rocsparseL22gebsrmvn_mxn_16_kernelILj72ELj9ELj8EfEEvi20rocsparse_direction_NS_24const_host_device_scalarIT2_EEPKiS6_PKS3_iiS8_S4_PS3_21rocsparse_index_base_b
; %bb.0:
	s_load_dwordx2 s[14:15], s[4:5], 0x48
	s_load_dwordx2 s[10:11], s[4:5], 0x8
	;; [unrolled: 1-line block ×3, first 2 shown]
	s_waitcnt lgkmcnt(0)
	s_bitcmp1_b32 s15, 0
	s_cselect_b64 s[2:3], -1, 0
	s_xor_b64 s[0:1], s[2:3], -1
	s_and_b64 vcc, exec, s[2:3]
	s_cbranch_vccnz .LBB7_2
; %bb.1:
	s_load_dword s10, s[10:11], 0x0
.LBB7_2:
	s_andn2_b64 vcc, exec, s[0:1]
	s_cbranch_vccnz .LBB7_4
; %bb.3:
	s_load_dword s8, s[8:9], 0x0
.LBB7_4:
	s_waitcnt lgkmcnt(0)
	v_cmp_eq_f32_e64 s[0:1], s10, 0
	v_cmp_eq_f32_e64 s[2:3], s8, 1.0
	s_and_b64 s[0:1], s[0:1], s[2:3]
	s_and_b64 vcc, exec, s[0:1]
	s_cbranch_vccnz .LBB7_36
; %bb.5:
	s_load_dword s2, s[4:5], 0x4
	s_load_dwordx2 s[0:1], s[4:5], 0x10
	v_and_b32_e32 v6, 7, v0
	v_mov_b32_e32 v7, v6
	s_waitcnt lgkmcnt(0)
	s_cmp_lg_u32 s2, 1
	s_cselect_b64 s[16:17], -1, 0
	s_and_b64 vcc, exec, s[16:17]
	s_cbranch_vccnz .LBB7_7
; %bb.6:
	v_mul_u32_u24_e32 v1, 0x1c72, v0
	v_bfe_u32 v7, v1, 16, 3
.LBB7_7:
	s_ashr_i32 s7, s6, 31
	s_lshl_b64 s[2:3], s[6:7], 2
	s_add_u32 s0, s0, s2
	s_addc_u32 s1, s1, s3
	s_load_dwordx2 s[20:21], s[0:1], 0x0
	s_load_dwordx2 s[12:13], s[4:5], 0x40
	v_mov_b32_e32 v5, 0
	s_waitcnt lgkmcnt(0)
	s_cmp_ge_i32 s20, s21
	s_cbranch_scc1 .LBB7_12
; %bb.8:
	s_load_dwordx4 s[0:3], s[4:5], 0x18
	s_load_dwordx2 s[18:19], s[4:5], 0x30
	s_mul_i32 s4, s20, 0x48
	v_add_u32_e32 v1, s4, v0
	s_mul_i32 s4, s14, 0x48
	v_mov_b32_e32 v2, 0
	s_sub_i32 s7, s21, s14
	s_sub_i32 s9, s20, s14
	v_mul_u32_u24_e32 v8, 0x38f, v0
	v_subrev_u32_e32 v1, s4, v1
	v_mov_b32_e32 v5, v2
	s_branch .LBB7_10
.LBB7_9:                                ;   in Loop: Header=BB7_10 Depth=1
	s_or_b64 exec, exec, s[4:5]
	s_add_i32 s9, s9, 1
	s_cmp_ge_i32 s9, s7
	v_add_u32_e32 v1, 0x48, v1
	s_cbranch_scc1 .LBB7_12
.LBB7_10:                               ; =>This Inner Loop Header: Depth=1
	v_add_u32_sdwa v3, v8, s9 dst_sel:DWORD dst_unused:UNUSED_PAD src0_sel:WORD_1 src1_sel:DWORD
	v_cmp_gt_i32_e32 vcc, s7, v3
	s_and_saveexec_b64 s[4:5], vcc
	s_cbranch_execz .LBB7_9
; %bb.11:                               ;   in Loop: Header=BB7_10 Depth=1
	v_ashrrev_i32_e32 v4, 31, v3
	v_lshlrev_b64 v[3:4], 2, v[3:4]
	s_waitcnt lgkmcnt(0)
	v_mov_b32_e32 v9, s1
	v_add_co_u32_e32 v3, vcc, s0, v3
	v_addc_co_u32_e32 v4, vcc, v9, v4, vcc
	global_load_dword v9, v[3:4], off
	v_lshlrev_b64 v[3:4], 2, v[1:2]
	v_mov_b32_e32 v10, s3
	v_add_co_u32_e32 v3, vcc, s2, v3
	v_addc_co_u32_e32 v4, vcc, v10, v4, vcc
	global_load_dword v10, v[3:4], off
	v_mov_b32_e32 v11, s19
	s_waitcnt vmcnt(1)
	v_subrev_u32_e32 v3, s14, v9
	v_lshl_or_b32 v3, v3, 3, v7
	v_ashrrev_i32_e32 v4, 31, v3
	v_lshlrev_b64 v[3:4], 2, v[3:4]
	v_add_co_u32_e32 v3, vcc, s18, v3
	v_addc_co_u32_e32 v4, vcc, v11, v4, vcc
	global_load_dword v3, v[3:4], off
	s_waitcnt vmcnt(0)
	v_fmac_f32_e32 v5, v10, v3
	s_branch .LBB7_9
.LBB7_12:
	v_lshlrev_b32_e32 v1, 2, v0
	s_and_b64 vcc, exec, s[16:17]
	ds_write_b32 v1, v5
	s_waitcnt lgkmcnt(0)
	s_barrier
	s_cbranch_vccz .LBB7_22
; %bb.13:
	v_cmp_gt_u32_e32 vcc, 4, v6
	s_and_saveexec_b64 s[0:1], vcc
	s_cbranch_execz .LBB7_15
; %bb.14:
	ds_read2_b32 v[2:3], v1 offset1:4
	s_waitcnt lgkmcnt(0)
	v_add_f32_e32 v2, v3, v2
	ds_write_b32 v1, v2
.LBB7_15:
	s_or_b64 exec, exec, s[0:1]
	v_cmp_gt_u32_e32 vcc, 2, v6
	s_waitcnt lgkmcnt(0)
	s_barrier
	s_and_saveexec_b64 s[0:1], vcc
	s_cbranch_execz .LBB7_17
; %bb.16:
	ds_read2_b32 v[2:3], v1 offset1:2
	s_waitcnt lgkmcnt(0)
	v_add_f32_e32 v2, v3, v2
	ds_write_b32 v1, v2
.LBB7_17:
	s_or_b64 exec, exec, s[0:1]
	v_cmp_eq_u32_e32 vcc, 0, v6
	s_waitcnt lgkmcnt(0)
	s_barrier
	s_and_saveexec_b64 s[0:1], vcc
	s_cbranch_execz .LBB7_19
; %bb.18:
	ds_read2_b32 v[2:3], v1 offset1:1
	s_waitcnt lgkmcnt(0)
	v_add_f32_e32 v2, v3, v2
	ds_write_b32 v1, v2
.LBB7_19:
	s_or_b64 exec, exec, s[0:1]
	v_cmp_gt_u32_e32 vcc, 9, v0
	v_mov_b32_e32 v2, v5
	s_waitcnt lgkmcnt(0)
	s_barrier
	s_and_saveexec_b64 s[0:1], vcc
; %bb.20:
	v_mad_u32_u24 v2, v0, 28, v1
	ds_read_b32 v2, v2
; %bb.21:
	s_or_b64 exec, exec, s[0:1]
	s_branch .LBB7_32
.LBB7_22:
                                        ; implicit-def: $vgpr2
	s_cbranch_execz .LBB7_32
; %bb.23:
	v_cmp_gt_u32_e32 vcc, 36, v0
	s_and_saveexec_b64 s[0:1], vcc
	s_cbranch_execz .LBB7_25
; %bb.24:
	s_waitcnt lgkmcnt(0)
	ds_read2_b32 v[2:3], v1 offset1:36
	s_waitcnt lgkmcnt(0)
	v_add_f32_e32 v2, v3, v2
	ds_write_b32 v1, v2
.LBB7_25:
	s_or_b64 exec, exec, s[0:1]
	v_cmp_gt_u32_e32 vcc, 18, v0
	s_waitcnt lgkmcnt(0)
	s_barrier
	s_and_saveexec_b64 s[0:1], vcc
	s_cbranch_execz .LBB7_27
; %bb.26:
	ds_read2_b32 v[2:3], v1 offset1:18
	s_waitcnt lgkmcnt(0)
	v_add_f32_e32 v2, v3, v2
	ds_write_b32 v1, v2
.LBB7_27:
	s_or_b64 exec, exec, s[0:1]
	v_cmp_lt_u32_e32 vcc, 8, v0
	s_waitcnt lgkmcnt(0)
	s_and_saveexec_b64 s[0:1], vcc
	s_xor_b64 s[0:1], exec, s[0:1]
; %bb.28:
                                        ; implicit-def: $vgpr1
; %bb.29:
	s_andn2_saveexec_b64 s[0:1], s[0:1]
	s_cbranch_execz .LBB7_31
; %bb.30:
	ds_read2_b32 v[2:3], v1 offset1:9
	s_waitcnt lgkmcnt(0)
	v_add_f32_e32 v2, v3, v2
	ds_write_b32 v1, v2
	s_waitcnt lgkmcnt(0)
	ds_read_b32 v5, v1
.LBB7_31:
	s_or_b64 exec, exec, s[0:1]
	s_waitcnt lgkmcnt(0)
	v_mov_b32_e32 v2, v5
.LBB7_32:
	v_cmp_gt_u32_e32 vcc, 9, v0
	s_and_saveexec_b64 s[0:1], vcc
	s_cbranch_execz .LBB7_36
; %bb.33:
	v_cmp_eq_f32_e64 s[0:1], s8, 0
	s_and_b64 vcc, exec, s[0:1]
	s_waitcnt lgkmcnt(0)
	v_mul_f32_e32 v1, s10, v2
	s_cbranch_vccz .LBB7_37
; %bb.34:
	v_mad_u64_u32 v[2:3], s[0:1], s6, 9, v[0:1]
	v_mov_b32_e32 v3, 0
	v_mov_b32_e32 v4, s13
	v_lshlrev_b64 v[2:3], 2, v[2:3]
	v_add_co_u32_e32 v2, vcc, s12, v2
	v_addc_co_u32_e32 v3, vcc, v4, v3, vcc
	global_store_dword v[2:3], v1, off
	s_cbranch_execnz .LBB7_36
.LBB7_35:
	v_mad_u64_u32 v[2:3], s[0:1], s6, 9, v[0:1]
	v_mov_b32_e32 v3, 0
	v_mov_b32_e32 v0, s13
	v_lshlrev_b64 v[2:3], 2, v[2:3]
	v_add_co_u32_e32 v2, vcc, s12, v2
	v_addc_co_u32_e32 v3, vcc, v0, v3, vcc
	global_load_dword v0, v[2:3], off
	s_waitcnt vmcnt(0)
	v_fmac_f32_e32 v1, s8, v0
	global_store_dword v[2:3], v1, off
.LBB7_36:
	s_endpgm
.LBB7_37:
	s_branch .LBB7_35
	.section	.rodata,"a",@progbits
	.p2align	6, 0x0
	.amdhsa_kernel _ZN9rocsparseL22gebsrmvn_mxn_16_kernelILj72ELj9ELj8EfEEvi20rocsparse_direction_NS_24const_host_device_scalarIT2_EEPKiS6_PKS3_iiS8_S4_PS3_21rocsparse_index_base_b
		.amdhsa_group_segment_fixed_size 288
		.amdhsa_private_segment_fixed_size 0
		.amdhsa_kernarg_size 80
		.amdhsa_user_sgpr_count 6
		.amdhsa_user_sgpr_private_segment_buffer 1
		.amdhsa_user_sgpr_dispatch_ptr 0
		.amdhsa_user_sgpr_queue_ptr 0
		.amdhsa_user_sgpr_kernarg_segment_ptr 1
		.amdhsa_user_sgpr_dispatch_id 0
		.amdhsa_user_sgpr_flat_scratch_init 0
		.amdhsa_user_sgpr_private_segment_size 0
		.amdhsa_uses_dynamic_stack 0
		.amdhsa_system_sgpr_private_segment_wavefront_offset 0
		.amdhsa_system_sgpr_workgroup_id_x 1
		.amdhsa_system_sgpr_workgroup_id_y 0
		.amdhsa_system_sgpr_workgroup_id_z 0
		.amdhsa_system_sgpr_workgroup_info 0
		.amdhsa_system_vgpr_workitem_id 0
		.amdhsa_next_free_vgpr 12
		.amdhsa_next_free_sgpr 22
		.amdhsa_reserve_vcc 1
		.amdhsa_reserve_flat_scratch 0
		.amdhsa_float_round_mode_32 0
		.amdhsa_float_round_mode_16_64 0
		.amdhsa_float_denorm_mode_32 3
		.amdhsa_float_denorm_mode_16_64 3
		.amdhsa_dx10_clamp 1
		.amdhsa_ieee_mode 1
		.amdhsa_fp16_overflow 0
		.amdhsa_exception_fp_ieee_invalid_op 0
		.amdhsa_exception_fp_denorm_src 0
		.amdhsa_exception_fp_ieee_div_zero 0
		.amdhsa_exception_fp_ieee_overflow 0
		.amdhsa_exception_fp_ieee_underflow 0
		.amdhsa_exception_fp_ieee_inexact 0
		.amdhsa_exception_int_div_zero 0
	.end_amdhsa_kernel
	.section	.text._ZN9rocsparseL22gebsrmvn_mxn_16_kernelILj72ELj9ELj8EfEEvi20rocsparse_direction_NS_24const_host_device_scalarIT2_EEPKiS6_PKS3_iiS8_S4_PS3_21rocsparse_index_base_b,"axG",@progbits,_ZN9rocsparseL22gebsrmvn_mxn_16_kernelILj72ELj9ELj8EfEEvi20rocsparse_direction_NS_24const_host_device_scalarIT2_EEPKiS6_PKS3_iiS8_S4_PS3_21rocsparse_index_base_b,comdat
.Lfunc_end7:
	.size	_ZN9rocsparseL22gebsrmvn_mxn_16_kernelILj72ELj9ELj8EfEEvi20rocsparse_direction_NS_24const_host_device_scalarIT2_EEPKiS6_PKS3_iiS8_S4_PS3_21rocsparse_index_base_b, .Lfunc_end7-_ZN9rocsparseL22gebsrmvn_mxn_16_kernelILj72ELj9ELj8EfEEvi20rocsparse_direction_NS_24const_host_device_scalarIT2_EEPKiS6_PKS3_iiS8_S4_PS3_21rocsparse_index_base_b
                                        ; -- End function
	.set _ZN9rocsparseL22gebsrmvn_mxn_16_kernelILj72ELj9ELj8EfEEvi20rocsparse_direction_NS_24const_host_device_scalarIT2_EEPKiS6_PKS3_iiS8_S4_PS3_21rocsparse_index_base_b.num_vgpr, 12
	.set _ZN9rocsparseL22gebsrmvn_mxn_16_kernelILj72ELj9ELj8EfEEvi20rocsparse_direction_NS_24const_host_device_scalarIT2_EEPKiS6_PKS3_iiS8_S4_PS3_21rocsparse_index_base_b.num_agpr, 0
	.set _ZN9rocsparseL22gebsrmvn_mxn_16_kernelILj72ELj9ELj8EfEEvi20rocsparse_direction_NS_24const_host_device_scalarIT2_EEPKiS6_PKS3_iiS8_S4_PS3_21rocsparse_index_base_b.numbered_sgpr, 22
	.set _ZN9rocsparseL22gebsrmvn_mxn_16_kernelILj72ELj9ELj8EfEEvi20rocsparse_direction_NS_24const_host_device_scalarIT2_EEPKiS6_PKS3_iiS8_S4_PS3_21rocsparse_index_base_b.num_named_barrier, 0
	.set _ZN9rocsparseL22gebsrmvn_mxn_16_kernelILj72ELj9ELj8EfEEvi20rocsparse_direction_NS_24const_host_device_scalarIT2_EEPKiS6_PKS3_iiS8_S4_PS3_21rocsparse_index_base_b.private_seg_size, 0
	.set _ZN9rocsparseL22gebsrmvn_mxn_16_kernelILj72ELj9ELj8EfEEvi20rocsparse_direction_NS_24const_host_device_scalarIT2_EEPKiS6_PKS3_iiS8_S4_PS3_21rocsparse_index_base_b.uses_vcc, 1
	.set _ZN9rocsparseL22gebsrmvn_mxn_16_kernelILj72ELj9ELj8EfEEvi20rocsparse_direction_NS_24const_host_device_scalarIT2_EEPKiS6_PKS3_iiS8_S4_PS3_21rocsparse_index_base_b.uses_flat_scratch, 0
	.set _ZN9rocsparseL22gebsrmvn_mxn_16_kernelILj72ELj9ELj8EfEEvi20rocsparse_direction_NS_24const_host_device_scalarIT2_EEPKiS6_PKS3_iiS8_S4_PS3_21rocsparse_index_base_b.has_dyn_sized_stack, 0
	.set _ZN9rocsparseL22gebsrmvn_mxn_16_kernelILj72ELj9ELj8EfEEvi20rocsparse_direction_NS_24const_host_device_scalarIT2_EEPKiS6_PKS3_iiS8_S4_PS3_21rocsparse_index_base_b.has_recursion, 0
	.set _ZN9rocsparseL22gebsrmvn_mxn_16_kernelILj72ELj9ELj8EfEEvi20rocsparse_direction_NS_24const_host_device_scalarIT2_EEPKiS6_PKS3_iiS8_S4_PS3_21rocsparse_index_base_b.has_indirect_call, 0
	.section	.AMDGPU.csdata,"",@progbits
; Kernel info:
; codeLenInByte = 968
; TotalNumSgprs: 26
; NumVgprs: 12
; ScratchSize: 0
; MemoryBound: 0
; FloatMode: 240
; IeeeMode: 1
; LDSByteSize: 288 bytes/workgroup (compile time only)
; SGPRBlocks: 3
; VGPRBlocks: 2
; NumSGPRsForWavesPerEU: 26
; NumVGPRsForWavesPerEU: 12
; Occupancy: 10
; WaveLimiterHint : 1
; COMPUTE_PGM_RSRC2:SCRATCH_EN: 0
; COMPUTE_PGM_RSRC2:USER_SGPR: 6
; COMPUTE_PGM_RSRC2:TRAP_HANDLER: 0
; COMPUTE_PGM_RSRC2:TGID_X_EN: 1
; COMPUTE_PGM_RSRC2:TGID_Y_EN: 0
; COMPUTE_PGM_RSRC2:TGID_Z_EN: 0
; COMPUTE_PGM_RSRC2:TIDIG_COMP_CNT: 0
	.section	.text._ZN9rocsparseL23gebsrmvn_general_kernelILj256ELj16EfEEvi20rocsparse_direction_NS_24const_host_device_scalarIT1_EEPKiS6_PKS3_iiS8_S4_PS3_21rocsparse_index_base_b,"axG",@progbits,_ZN9rocsparseL23gebsrmvn_general_kernelILj256ELj16EfEEvi20rocsparse_direction_NS_24const_host_device_scalarIT1_EEPKiS6_PKS3_iiS8_S4_PS3_21rocsparse_index_base_b,comdat
	.globl	_ZN9rocsparseL23gebsrmvn_general_kernelILj256ELj16EfEEvi20rocsparse_direction_NS_24const_host_device_scalarIT1_EEPKiS6_PKS3_iiS8_S4_PS3_21rocsparse_index_base_b ; -- Begin function _ZN9rocsparseL23gebsrmvn_general_kernelILj256ELj16EfEEvi20rocsparse_direction_NS_24const_host_device_scalarIT1_EEPKiS6_PKS3_iiS8_S4_PS3_21rocsparse_index_base_b
	.p2align	8
	.type	_ZN9rocsparseL23gebsrmvn_general_kernelILj256ELj16EfEEvi20rocsparse_direction_NS_24const_host_device_scalarIT1_EEPKiS6_PKS3_iiS8_S4_PS3_21rocsparse_index_base_b,@function
_ZN9rocsparseL23gebsrmvn_general_kernelILj256ELj16EfEEvi20rocsparse_direction_NS_24const_host_device_scalarIT1_EEPKiS6_PKS3_iiS8_S4_PS3_21rocsparse_index_base_b: ; @_ZN9rocsparseL23gebsrmvn_general_kernelILj256ELj16EfEEvi20rocsparse_direction_NS_24const_host_device_scalarIT1_EEPKiS6_PKS3_iiS8_S4_PS3_21rocsparse_index_base_b
; %bb.0:
	s_load_dwordx2 s[12:13], s[4:5], 0x48
	s_load_dwordx2 s[14:15], s[4:5], 0x8
	;; [unrolled: 1-line block ×3, first 2 shown]
	s_waitcnt lgkmcnt(0)
	s_bitcmp1_b32 s13, 0
	s_cselect_b64 s[2:3], -1, 0
	s_xor_b64 s[0:1], s[2:3], -1
	s_and_b64 vcc, exec, s[2:3]
	s_cbranch_vccnz .LBB8_2
; %bb.1:
	s_load_dword s14, s[14:15], 0x0
.LBB8_2:
	s_andn2_b64 vcc, exec, s[0:1]
	s_cbranch_vccnz .LBB8_4
; %bb.3:
	s_load_dword s16, s[16:17], 0x0
.LBB8_4:
	s_waitcnt lgkmcnt(0)
	v_cmp_eq_f32_e64 s[0:1], s14, 0
	v_cmp_eq_f32_e64 s[2:3], s16, 1.0
	s_and_b64 s[0:1], s[0:1], s[2:3]
	s_and_b64 vcc, exec, s[0:1]
	s_cbranch_vccnz .LBB8_24
; %bb.5:
	s_load_dwordx2 s[18:19], s[4:5], 0x28
	v_lshrrev_b32_e32 v1, 4, v0
	s_waitcnt lgkmcnt(0)
	v_cmp_gt_i32_e32 vcc, s18, v1
	s_and_saveexec_b64 s[0:1], vcc
	s_cbranch_execz .LBB8_24
; %bb.6:
	s_load_dwordx4 s[8:11], s[4:5], 0x10
	s_load_dword s17, s[4:5], 0x4
	s_ashr_i32 s7, s6, 31
	s_lshl_b64 s[0:1], s[6:7], 2
	v_and_b32_e32 v0, 15, v0
	s_waitcnt lgkmcnt(0)
	s_add_u32 s0, s8, s0
	s_addc_u32 s1, s9, s1
	s_load_dwordx2 s[2:3], s[0:1], 0x0
	s_load_dwordx2 s[8:9], s[4:5], 0x20
	;; [unrolled: 1-line block ×4, first 2 shown]
	v_cmp_gt_i32_e64 s[0:1], s19, v0
	s_waitcnt lgkmcnt(0)
	s_sub_i32 s13, s2, s12
	s_sub_i32 s15, s3, s12
	s_cmp_lt_i32 s2, s3
	s_cselect_b64 s[4:5], -1, 0
	s_cmp_lg_u32 s17, 0
	s_mul_i32 s17, s18, s6
	s_mul_i32 s6, s18, s13
	v_add_u32_e32 v2, s6, v1
	v_mul_lo_u32 v4, s19, v2
	v_cndmask_b32_e64 v2, 0, 1, s[4:5]
	s_cselect_b64 s[24:25], -1, 0
	v_cmp_eq_u32_e64 s[2:3], 15, v0
	v_cmp_eq_f32_e64 s[26:27], s16, 0
	s_lshl_b32 s33, s19, 4
	s_mul_i32 s38, s19, s18
	s_mov_b64 s[6:7], 0
	v_cmp_ne_u32_e64 s[4:5], 1, v2
	s_branch .LBB8_8
.LBB8_7:                                ;   in Loop: Header=BB8_8 Depth=1
	s_or_b64 exec, exec, s[28:29]
	v_add_u32_e32 v1, 16, v1
	v_cmp_le_i32_e32 vcc, s18, v1
	s_or_b64 s[6:7], vcc, s[6:7]
	v_add_u32_e32 v4, s33, v4
	s_andn2_b64 exec, exec, s[6:7]
	s_cbranch_execz .LBB8_24
.LBB8_8:                                ; =>This Loop Header: Depth=1
                                        ;     Child Loop BB8_12 Depth 2
                                        ;       Child Loop BB8_15 Depth 3
	s_and_b64 vcc, exec, s[4:5]
	v_mov_b32_e32 v5, 0
	s_cbranch_vccnz .LBB8_19
; %bb.9:                                ;   in Loop: Header=BB8_8 Depth=1
	v_mov_b32_e32 v5, 0
	v_mov_b32_e32 v6, v4
	s_mov_b32 s28, s13
	s_branch .LBB8_12
.LBB8_10:                               ;   in Loop: Header=BB8_12 Depth=2
	s_or_b64 exec, exec, s[34:35]
.LBB8_11:                               ;   in Loop: Header=BB8_12 Depth=2
	s_or_b64 exec, exec, s[30:31]
	s_add_i32 s28, s28, 1
	s_cmp_ge_i32 s28, s15
	v_add_u32_e32 v6, s38, v6
	s_cbranch_scc1 .LBB8_19
.LBB8_12:                               ;   Parent Loop BB8_8 Depth=1
                                        ; =>  This Loop Header: Depth=2
                                        ;       Child Loop BB8_15 Depth 3
	s_and_saveexec_b64 s[30:31], s[0:1]
	s_cbranch_execz .LBB8_11
; %bb.13:                               ;   in Loop: Header=BB8_12 Depth=2
	s_ashr_i32 s29, s28, 31
	s_lshl_b64 s[34:35], s[28:29], 2
	s_add_u32 s34, s10, s34
	s_addc_u32 s35, s11, s35
	s_load_dword s36, s[34:35], 0x0
	s_mul_i32 s29, s28, s19
	s_mov_b64 s[34:35], 0
	v_mov_b32_e32 v7, v0
	s_waitcnt lgkmcnt(0)
	s_sub_i32 s39, s36, s12
	s_mul_i32 s39, s39, s19
	s_branch .LBB8_15
.LBB8_14:                               ;   in Loop: Header=BB8_15 Depth=3
	v_ashrrev_i32_e32 v3, 31, v2
	v_lshlrev_b64 v[2:3], 2, v[2:3]
	v_mov_b32_e32 v8, s9
	v_add_co_u32_e32 v2, vcc, s8, v2
	v_addc_co_u32_e32 v3, vcc, v8, v3, vcc
	global_load_dword v8, v[2:3], off
	v_add_u32_e32 v2, s39, v7
	v_ashrrev_i32_e32 v3, 31, v2
	v_lshlrev_b64 v[2:3], 2, v[2:3]
	v_mov_b32_e32 v9, s21
	v_add_co_u32_e32 v2, vcc, s20, v2
	v_addc_co_u32_e32 v3, vcc, v9, v3, vcc
	global_load_dword v2, v[2:3], off
	v_add_u32_e32 v7, 16, v7
	v_cmp_le_i32_e32 vcc, s19, v7
	s_or_b64 s[34:35], vcc, s[34:35]
	s_waitcnt vmcnt(0)
	v_fmac_f32_e32 v5, v8, v2
	s_andn2_b64 exec, exec, s[34:35]
	s_cbranch_execz .LBB8_10
.LBB8_15:                               ;   Parent Loop BB8_8 Depth=1
                                        ;     Parent Loop BB8_12 Depth=2
                                        ; =>    This Inner Loop Header: Depth=3
	s_and_b64 vcc, exec, s[24:25]
	s_cbranch_vccz .LBB8_17
; %bb.16:                               ;   in Loop: Header=BB8_15 Depth=3
	v_add_u32_e32 v2, s29, v7
	v_mad_u64_u32 v[2:3], s[36:37], v2, s18, v[1:2]
	s_cbranch_execnz .LBB8_14
	s_branch .LBB8_18
.LBB8_17:                               ;   in Loop: Header=BB8_15 Depth=3
                                        ; implicit-def: $vgpr2
.LBB8_18:                               ;   in Loop: Header=BB8_15 Depth=3
	v_add_u32_e32 v2, v6, v7
	s_branch .LBB8_14
.LBB8_19:                               ;   in Loop: Header=BB8_8 Depth=1
	s_nop 0
	v_mov_b32_dpp v2, v5 row_shr:1 row_mask:0xf bank_mask:0xf
	v_add_f32_e32 v2, v5, v2
	s_nop 1
	v_mov_b32_dpp v3, v2 row_shr:2 row_mask:0xf bank_mask:0xf
	v_add_f32_e32 v2, v2, v3
	s_nop 1
	v_mov_b32_dpp v3, v2 row_shr:4 row_mask:0xf bank_mask:0xe
	v_add_f32_e32 v2, v2, v3
	s_nop 1
	v_mov_b32_dpp v3, v2 row_shr:8 row_mask:0xf bank_mask:0xc
	s_and_saveexec_b64 s[28:29], s[2:3]
	s_cbranch_execz .LBB8_7
; %bb.20:                               ;   in Loop: Header=BB8_8 Depth=1
	v_add_f32_e32 v2, v2, v3
	v_mul_f32_e32 v5, s14, v2
	v_add_u32_e32 v2, s17, v1
	s_and_b64 vcc, exec, s[26:27]
	v_ashrrev_i32_e32 v3, 31, v2
	s_cbranch_vccz .LBB8_22
; %bb.21:                               ;   in Loop: Header=BB8_8 Depth=1
	v_lshlrev_b64 v[6:7], 2, v[2:3]
	v_mov_b32_e32 v8, s23
	v_add_co_u32_e32 v6, vcc, s22, v6
	v_addc_co_u32_e32 v7, vcc, v8, v7, vcc
	global_store_dword v[6:7], v5, off
	s_cbranch_execnz .LBB8_7
	s_branch .LBB8_23
.LBB8_22:                               ;   in Loop: Header=BB8_8 Depth=1
.LBB8_23:                               ;   in Loop: Header=BB8_8 Depth=1
	v_lshlrev_b64 v[2:3], 2, v[2:3]
	v_mov_b32_e32 v6, s23
	v_add_co_u32_e32 v2, vcc, s22, v2
	v_addc_co_u32_e32 v3, vcc, v6, v3, vcc
	global_load_dword v6, v[2:3], off
	s_waitcnt vmcnt(0)
	v_fmac_f32_e32 v5, s16, v6
	global_store_dword v[2:3], v5, off
	s_branch .LBB8_7
.LBB8_24:
	s_endpgm
	.section	.rodata,"a",@progbits
	.p2align	6, 0x0
	.amdhsa_kernel _ZN9rocsparseL23gebsrmvn_general_kernelILj256ELj16EfEEvi20rocsparse_direction_NS_24const_host_device_scalarIT1_EEPKiS6_PKS3_iiS8_S4_PS3_21rocsparse_index_base_b
		.amdhsa_group_segment_fixed_size 0
		.amdhsa_private_segment_fixed_size 0
		.amdhsa_kernarg_size 80
		.amdhsa_user_sgpr_count 6
		.amdhsa_user_sgpr_private_segment_buffer 1
		.amdhsa_user_sgpr_dispatch_ptr 0
		.amdhsa_user_sgpr_queue_ptr 0
		.amdhsa_user_sgpr_kernarg_segment_ptr 1
		.amdhsa_user_sgpr_dispatch_id 0
		.amdhsa_user_sgpr_flat_scratch_init 0
		.amdhsa_user_sgpr_private_segment_size 0
		.amdhsa_uses_dynamic_stack 0
		.amdhsa_system_sgpr_private_segment_wavefront_offset 0
		.amdhsa_system_sgpr_workgroup_id_x 1
		.amdhsa_system_sgpr_workgroup_id_y 0
		.amdhsa_system_sgpr_workgroup_id_z 0
		.amdhsa_system_sgpr_workgroup_info 0
		.amdhsa_system_vgpr_workitem_id 0
		.amdhsa_next_free_vgpr 10
		.amdhsa_next_free_sgpr 40
		.amdhsa_reserve_vcc 1
		.amdhsa_reserve_flat_scratch 0
		.amdhsa_float_round_mode_32 0
		.amdhsa_float_round_mode_16_64 0
		.amdhsa_float_denorm_mode_32 3
		.amdhsa_float_denorm_mode_16_64 3
		.amdhsa_dx10_clamp 1
		.amdhsa_ieee_mode 1
		.amdhsa_fp16_overflow 0
		.amdhsa_exception_fp_ieee_invalid_op 0
		.amdhsa_exception_fp_denorm_src 0
		.amdhsa_exception_fp_ieee_div_zero 0
		.amdhsa_exception_fp_ieee_overflow 0
		.amdhsa_exception_fp_ieee_underflow 0
		.amdhsa_exception_fp_ieee_inexact 0
		.amdhsa_exception_int_div_zero 0
	.end_amdhsa_kernel
	.section	.text._ZN9rocsparseL23gebsrmvn_general_kernelILj256ELj16EfEEvi20rocsparse_direction_NS_24const_host_device_scalarIT1_EEPKiS6_PKS3_iiS8_S4_PS3_21rocsparse_index_base_b,"axG",@progbits,_ZN9rocsparseL23gebsrmvn_general_kernelILj256ELj16EfEEvi20rocsparse_direction_NS_24const_host_device_scalarIT1_EEPKiS6_PKS3_iiS8_S4_PS3_21rocsparse_index_base_b,comdat
.Lfunc_end8:
	.size	_ZN9rocsparseL23gebsrmvn_general_kernelILj256ELj16EfEEvi20rocsparse_direction_NS_24const_host_device_scalarIT1_EEPKiS6_PKS3_iiS8_S4_PS3_21rocsparse_index_base_b, .Lfunc_end8-_ZN9rocsparseL23gebsrmvn_general_kernelILj256ELj16EfEEvi20rocsparse_direction_NS_24const_host_device_scalarIT1_EEPKiS6_PKS3_iiS8_S4_PS3_21rocsparse_index_base_b
                                        ; -- End function
	.set _ZN9rocsparseL23gebsrmvn_general_kernelILj256ELj16EfEEvi20rocsparse_direction_NS_24const_host_device_scalarIT1_EEPKiS6_PKS3_iiS8_S4_PS3_21rocsparse_index_base_b.num_vgpr, 10
	.set _ZN9rocsparseL23gebsrmvn_general_kernelILj256ELj16EfEEvi20rocsparse_direction_NS_24const_host_device_scalarIT1_EEPKiS6_PKS3_iiS8_S4_PS3_21rocsparse_index_base_b.num_agpr, 0
	.set _ZN9rocsparseL23gebsrmvn_general_kernelILj256ELj16EfEEvi20rocsparse_direction_NS_24const_host_device_scalarIT1_EEPKiS6_PKS3_iiS8_S4_PS3_21rocsparse_index_base_b.numbered_sgpr, 40
	.set _ZN9rocsparseL23gebsrmvn_general_kernelILj256ELj16EfEEvi20rocsparse_direction_NS_24const_host_device_scalarIT1_EEPKiS6_PKS3_iiS8_S4_PS3_21rocsparse_index_base_b.num_named_barrier, 0
	.set _ZN9rocsparseL23gebsrmvn_general_kernelILj256ELj16EfEEvi20rocsparse_direction_NS_24const_host_device_scalarIT1_EEPKiS6_PKS3_iiS8_S4_PS3_21rocsparse_index_base_b.private_seg_size, 0
	.set _ZN9rocsparseL23gebsrmvn_general_kernelILj256ELj16EfEEvi20rocsparse_direction_NS_24const_host_device_scalarIT1_EEPKiS6_PKS3_iiS8_S4_PS3_21rocsparse_index_base_b.uses_vcc, 1
	.set _ZN9rocsparseL23gebsrmvn_general_kernelILj256ELj16EfEEvi20rocsparse_direction_NS_24const_host_device_scalarIT1_EEPKiS6_PKS3_iiS8_S4_PS3_21rocsparse_index_base_b.uses_flat_scratch, 0
	.set _ZN9rocsparseL23gebsrmvn_general_kernelILj256ELj16EfEEvi20rocsparse_direction_NS_24const_host_device_scalarIT1_EEPKiS6_PKS3_iiS8_S4_PS3_21rocsparse_index_base_b.has_dyn_sized_stack, 0
	.set _ZN9rocsparseL23gebsrmvn_general_kernelILj256ELj16EfEEvi20rocsparse_direction_NS_24const_host_device_scalarIT1_EEPKiS6_PKS3_iiS8_S4_PS3_21rocsparse_index_base_b.has_recursion, 0
	.set _ZN9rocsparseL23gebsrmvn_general_kernelILj256ELj16EfEEvi20rocsparse_direction_NS_24const_host_device_scalarIT1_EEPKiS6_PKS3_iiS8_S4_PS3_21rocsparse_index_base_b.has_indirect_call, 0
	.section	.AMDGPU.csdata,"",@progbits
; Kernel info:
; codeLenInByte = 760
; TotalNumSgprs: 44
; NumVgprs: 10
; ScratchSize: 0
; MemoryBound: 0
; FloatMode: 240
; IeeeMode: 1
; LDSByteSize: 0 bytes/workgroup (compile time only)
; SGPRBlocks: 5
; VGPRBlocks: 2
; NumSGPRsForWavesPerEU: 44
; NumVGPRsForWavesPerEU: 10
; Occupancy: 10
; WaveLimiterHint : 1
; COMPUTE_PGM_RSRC2:SCRATCH_EN: 0
; COMPUTE_PGM_RSRC2:USER_SGPR: 6
; COMPUTE_PGM_RSRC2:TRAP_HANDLER: 0
; COMPUTE_PGM_RSRC2:TGID_X_EN: 1
; COMPUTE_PGM_RSRC2:TGID_Y_EN: 0
; COMPUTE_PGM_RSRC2:TGID_Z_EN: 0
; COMPUTE_PGM_RSRC2:TIDIG_COMP_CNT: 0
	.section	.text._ZN9rocsparseL23gebsrmvn_general_kernelILj512ELj32EfEEvi20rocsparse_direction_NS_24const_host_device_scalarIT1_EEPKiS6_PKS3_iiS8_S4_PS3_21rocsparse_index_base_b,"axG",@progbits,_ZN9rocsparseL23gebsrmvn_general_kernelILj512ELj32EfEEvi20rocsparse_direction_NS_24const_host_device_scalarIT1_EEPKiS6_PKS3_iiS8_S4_PS3_21rocsparse_index_base_b,comdat
	.globl	_ZN9rocsparseL23gebsrmvn_general_kernelILj512ELj32EfEEvi20rocsparse_direction_NS_24const_host_device_scalarIT1_EEPKiS6_PKS3_iiS8_S4_PS3_21rocsparse_index_base_b ; -- Begin function _ZN9rocsparseL23gebsrmvn_general_kernelILj512ELj32EfEEvi20rocsparse_direction_NS_24const_host_device_scalarIT1_EEPKiS6_PKS3_iiS8_S4_PS3_21rocsparse_index_base_b
	.p2align	8
	.type	_ZN9rocsparseL23gebsrmvn_general_kernelILj512ELj32EfEEvi20rocsparse_direction_NS_24const_host_device_scalarIT1_EEPKiS6_PKS3_iiS8_S4_PS3_21rocsparse_index_base_b,@function
_ZN9rocsparseL23gebsrmvn_general_kernelILj512ELj32EfEEvi20rocsparse_direction_NS_24const_host_device_scalarIT1_EEPKiS6_PKS3_iiS8_S4_PS3_21rocsparse_index_base_b: ; @_ZN9rocsparseL23gebsrmvn_general_kernelILj512ELj32EfEEvi20rocsparse_direction_NS_24const_host_device_scalarIT1_EEPKiS6_PKS3_iiS8_S4_PS3_21rocsparse_index_base_b
; %bb.0:
	s_load_dwordx2 s[12:13], s[4:5], 0x48
	s_load_dwordx2 s[14:15], s[4:5], 0x8
	;; [unrolled: 1-line block ×3, first 2 shown]
	s_waitcnt lgkmcnt(0)
	s_bitcmp1_b32 s13, 0
	s_cselect_b64 s[2:3], -1, 0
	s_xor_b64 s[0:1], s[2:3], -1
	s_and_b64 vcc, exec, s[2:3]
	s_cbranch_vccnz .LBB9_2
; %bb.1:
	s_load_dword s14, s[14:15], 0x0
.LBB9_2:
	s_andn2_b64 vcc, exec, s[0:1]
	s_cbranch_vccnz .LBB9_4
; %bb.3:
	s_load_dword s16, s[16:17], 0x0
.LBB9_4:
	s_waitcnt lgkmcnt(0)
	v_cmp_eq_f32_e64 s[0:1], s14, 0
	v_cmp_eq_f32_e64 s[2:3], s16, 1.0
	s_and_b64 s[0:1], s[0:1], s[2:3]
	s_and_b64 vcc, exec, s[0:1]
	s_cbranch_vccnz .LBB9_24
; %bb.5:
	s_load_dwordx2 s[18:19], s[4:5], 0x28
	v_lshrrev_b32_e32 v1, 5, v0
	s_waitcnt lgkmcnt(0)
	v_cmp_gt_i32_e32 vcc, s18, v1
	s_and_saveexec_b64 s[0:1], vcc
	s_cbranch_execz .LBB9_24
; %bb.6:
	s_load_dwordx4 s[8:11], s[4:5], 0x10
	s_load_dword s17, s[4:5], 0x4
	s_ashr_i32 s7, s6, 31
	s_lshl_b64 s[0:1], s[6:7], 2
	v_and_b32_e32 v0, 31, v0
	s_waitcnt lgkmcnt(0)
	s_add_u32 s0, s8, s0
	s_addc_u32 s1, s9, s1
	s_load_dwordx2 s[2:3], s[0:1], 0x0
	s_load_dwordx2 s[8:9], s[4:5], 0x20
	;; [unrolled: 1-line block ×4, first 2 shown]
	v_cmp_gt_i32_e64 s[0:1], s19, v0
	s_waitcnt lgkmcnt(0)
	s_sub_i32 s13, s2, s12
	s_sub_i32 s15, s3, s12
	s_cmp_lt_i32 s2, s3
	s_cselect_b64 s[4:5], -1, 0
	s_cmp_lg_u32 s17, 0
	s_mul_i32 s17, s18, s6
	s_mul_i32 s6, s18, s13
	v_add_u32_e32 v2, s6, v1
	v_mul_lo_u32 v4, s19, v2
	v_cndmask_b32_e64 v2, 0, 1, s[4:5]
	s_cselect_b64 s[24:25], -1, 0
	v_cmp_eq_u32_e64 s[2:3], 31, v0
	v_cmp_eq_f32_e64 s[26:27], s16, 0
	s_lshl_b32 s33, s19, 4
	s_mul_i32 s38, s19, s18
	s_mov_b64 s[6:7], 0
	v_cmp_ne_u32_e64 s[4:5], 1, v2
	s_branch .LBB9_8
.LBB9_7:                                ;   in Loop: Header=BB9_8 Depth=1
	s_or_b64 exec, exec, s[28:29]
	v_add_u32_e32 v1, 16, v1
	v_cmp_le_i32_e32 vcc, s18, v1
	s_or_b64 s[6:7], vcc, s[6:7]
	v_add_u32_e32 v4, s33, v4
	s_andn2_b64 exec, exec, s[6:7]
	s_cbranch_execz .LBB9_24
.LBB9_8:                                ; =>This Loop Header: Depth=1
                                        ;     Child Loop BB9_12 Depth 2
                                        ;       Child Loop BB9_15 Depth 3
	s_and_b64 vcc, exec, s[4:5]
	v_mov_b32_e32 v5, 0
	s_cbranch_vccnz .LBB9_19
; %bb.9:                                ;   in Loop: Header=BB9_8 Depth=1
	v_mov_b32_e32 v5, 0
	v_mov_b32_e32 v6, v4
	s_mov_b32 s28, s13
	s_branch .LBB9_12
.LBB9_10:                               ;   in Loop: Header=BB9_12 Depth=2
	s_or_b64 exec, exec, s[34:35]
.LBB9_11:                               ;   in Loop: Header=BB9_12 Depth=2
	s_or_b64 exec, exec, s[30:31]
	s_add_i32 s28, s28, 1
	s_cmp_ge_i32 s28, s15
	v_add_u32_e32 v6, s38, v6
	s_cbranch_scc1 .LBB9_19
.LBB9_12:                               ;   Parent Loop BB9_8 Depth=1
                                        ; =>  This Loop Header: Depth=2
                                        ;       Child Loop BB9_15 Depth 3
	s_and_saveexec_b64 s[30:31], s[0:1]
	s_cbranch_execz .LBB9_11
; %bb.13:                               ;   in Loop: Header=BB9_12 Depth=2
	s_ashr_i32 s29, s28, 31
	s_lshl_b64 s[34:35], s[28:29], 2
	s_add_u32 s34, s10, s34
	s_addc_u32 s35, s11, s35
	s_load_dword s36, s[34:35], 0x0
	s_mul_i32 s29, s28, s19
	s_mov_b64 s[34:35], 0
	v_mov_b32_e32 v7, v0
	s_waitcnt lgkmcnt(0)
	s_sub_i32 s39, s36, s12
	s_mul_i32 s39, s39, s19
	s_branch .LBB9_15
.LBB9_14:                               ;   in Loop: Header=BB9_15 Depth=3
	v_ashrrev_i32_e32 v3, 31, v2
	v_lshlrev_b64 v[2:3], 2, v[2:3]
	v_mov_b32_e32 v8, s9
	v_add_co_u32_e32 v2, vcc, s8, v2
	v_addc_co_u32_e32 v3, vcc, v8, v3, vcc
	global_load_dword v8, v[2:3], off
	v_add_u32_e32 v2, s39, v7
	v_ashrrev_i32_e32 v3, 31, v2
	v_lshlrev_b64 v[2:3], 2, v[2:3]
	v_mov_b32_e32 v9, s21
	v_add_co_u32_e32 v2, vcc, s20, v2
	v_addc_co_u32_e32 v3, vcc, v9, v3, vcc
	global_load_dword v2, v[2:3], off
	v_add_u32_e32 v7, 32, v7
	v_cmp_le_i32_e32 vcc, s19, v7
	s_or_b64 s[34:35], vcc, s[34:35]
	s_waitcnt vmcnt(0)
	v_fmac_f32_e32 v5, v8, v2
	s_andn2_b64 exec, exec, s[34:35]
	s_cbranch_execz .LBB9_10
.LBB9_15:                               ;   Parent Loop BB9_8 Depth=1
                                        ;     Parent Loop BB9_12 Depth=2
                                        ; =>    This Inner Loop Header: Depth=3
	s_and_b64 vcc, exec, s[24:25]
	s_cbranch_vccz .LBB9_17
; %bb.16:                               ;   in Loop: Header=BB9_15 Depth=3
	v_add_u32_e32 v2, s29, v7
	v_mad_u64_u32 v[2:3], s[36:37], v2, s18, v[1:2]
	s_cbranch_execnz .LBB9_14
	s_branch .LBB9_18
.LBB9_17:                               ;   in Loop: Header=BB9_15 Depth=3
                                        ; implicit-def: $vgpr2
.LBB9_18:                               ;   in Loop: Header=BB9_15 Depth=3
	v_add_u32_e32 v2, v6, v7
	s_branch .LBB9_14
.LBB9_19:                               ;   in Loop: Header=BB9_8 Depth=1
	s_nop 0
	v_mov_b32_dpp v2, v5 row_shr:1 row_mask:0xf bank_mask:0xf
	v_add_f32_e32 v2, v5, v2
	s_nop 1
	v_mov_b32_dpp v3, v2 row_shr:2 row_mask:0xf bank_mask:0xf
	v_add_f32_e32 v2, v2, v3
	s_nop 1
	v_mov_b32_dpp v3, v2 row_shr:4 row_mask:0xf bank_mask:0xe
	v_add_f32_e32 v2, v2, v3
	s_nop 1
	v_mov_b32_dpp v3, v2 row_shr:8 row_mask:0xf bank_mask:0xc
	v_add_f32_e32 v2, v2, v3
	s_nop 1
	v_mov_b32_dpp v3, v2 row_bcast:15 row_mask:0xa bank_mask:0xf
	s_and_saveexec_b64 s[28:29], s[2:3]
	s_cbranch_execz .LBB9_7
; %bb.20:                               ;   in Loop: Header=BB9_8 Depth=1
	v_add_f32_e32 v2, v2, v3
	v_mul_f32_e32 v5, s14, v2
	v_add_u32_e32 v2, s17, v1
	s_and_b64 vcc, exec, s[26:27]
	v_ashrrev_i32_e32 v3, 31, v2
	s_cbranch_vccz .LBB9_22
; %bb.21:                               ;   in Loop: Header=BB9_8 Depth=1
	v_lshlrev_b64 v[6:7], 2, v[2:3]
	v_mov_b32_e32 v8, s23
	v_add_co_u32_e32 v6, vcc, s22, v6
	v_addc_co_u32_e32 v7, vcc, v8, v7, vcc
	global_store_dword v[6:7], v5, off
	s_cbranch_execnz .LBB9_7
	s_branch .LBB9_23
.LBB9_22:                               ;   in Loop: Header=BB9_8 Depth=1
.LBB9_23:                               ;   in Loop: Header=BB9_8 Depth=1
	v_lshlrev_b64 v[2:3], 2, v[2:3]
	v_mov_b32_e32 v6, s23
	v_add_co_u32_e32 v2, vcc, s22, v2
	v_addc_co_u32_e32 v3, vcc, v6, v3, vcc
	global_load_dword v6, v[2:3], off
	s_waitcnt vmcnt(0)
	v_fmac_f32_e32 v5, s16, v6
	global_store_dword v[2:3], v5, off
	s_branch .LBB9_7
.LBB9_24:
	s_endpgm
	.section	.rodata,"a",@progbits
	.p2align	6, 0x0
	.amdhsa_kernel _ZN9rocsparseL23gebsrmvn_general_kernelILj512ELj32EfEEvi20rocsparse_direction_NS_24const_host_device_scalarIT1_EEPKiS6_PKS3_iiS8_S4_PS3_21rocsparse_index_base_b
		.amdhsa_group_segment_fixed_size 0
		.amdhsa_private_segment_fixed_size 0
		.amdhsa_kernarg_size 80
		.amdhsa_user_sgpr_count 6
		.amdhsa_user_sgpr_private_segment_buffer 1
		.amdhsa_user_sgpr_dispatch_ptr 0
		.amdhsa_user_sgpr_queue_ptr 0
		.amdhsa_user_sgpr_kernarg_segment_ptr 1
		.amdhsa_user_sgpr_dispatch_id 0
		.amdhsa_user_sgpr_flat_scratch_init 0
		.amdhsa_user_sgpr_private_segment_size 0
		.amdhsa_uses_dynamic_stack 0
		.amdhsa_system_sgpr_private_segment_wavefront_offset 0
		.amdhsa_system_sgpr_workgroup_id_x 1
		.amdhsa_system_sgpr_workgroup_id_y 0
		.amdhsa_system_sgpr_workgroup_id_z 0
		.amdhsa_system_sgpr_workgroup_info 0
		.amdhsa_system_vgpr_workitem_id 0
		.amdhsa_next_free_vgpr 10
		.amdhsa_next_free_sgpr 40
		.amdhsa_reserve_vcc 1
		.amdhsa_reserve_flat_scratch 0
		.amdhsa_float_round_mode_32 0
		.amdhsa_float_round_mode_16_64 0
		.amdhsa_float_denorm_mode_32 3
		.amdhsa_float_denorm_mode_16_64 3
		.amdhsa_dx10_clamp 1
		.amdhsa_ieee_mode 1
		.amdhsa_fp16_overflow 0
		.amdhsa_exception_fp_ieee_invalid_op 0
		.amdhsa_exception_fp_denorm_src 0
		.amdhsa_exception_fp_ieee_div_zero 0
		.amdhsa_exception_fp_ieee_overflow 0
		.amdhsa_exception_fp_ieee_underflow 0
		.amdhsa_exception_fp_ieee_inexact 0
		.amdhsa_exception_int_div_zero 0
	.end_amdhsa_kernel
	.section	.text._ZN9rocsparseL23gebsrmvn_general_kernelILj512ELj32EfEEvi20rocsparse_direction_NS_24const_host_device_scalarIT1_EEPKiS6_PKS3_iiS8_S4_PS3_21rocsparse_index_base_b,"axG",@progbits,_ZN9rocsparseL23gebsrmvn_general_kernelILj512ELj32EfEEvi20rocsparse_direction_NS_24const_host_device_scalarIT1_EEPKiS6_PKS3_iiS8_S4_PS3_21rocsparse_index_base_b,comdat
.Lfunc_end9:
	.size	_ZN9rocsparseL23gebsrmvn_general_kernelILj512ELj32EfEEvi20rocsparse_direction_NS_24const_host_device_scalarIT1_EEPKiS6_PKS3_iiS8_S4_PS3_21rocsparse_index_base_b, .Lfunc_end9-_ZN9rocsparseL23gebsrmvn_general_kernelILj512ELj32EfEEvi20rocsparse_direction_NS_24const_host_device_scalarIT1_EEPKiS6_PKS3_iiS8_S4_PS3_21rocsparse_index_base_b
                                        ; -- End function
	.set _ZN9rocsparseL23gebsrmvn_general_kernelILj512ELj32EfEEvi20rocsparse_direction_NS_24const_host_device_scalarIT1_EEPKiS6_PKS3_iiS8_S4_PS3_21rocsparse_index_base_b.num_vgpr, 10
	.set _ZN9rocsparseL23gebsrmvn_general_kernelILj512ELj32EfEEvi20rocsparse_direction_NS_24const_host_device_scalarIT1_EEPKiS6_PKS3_iiS8_S4_PS3_21rocsparse_index_base_b.num_agpr, 0
	.set _ZN9rocsparseL23gebsrmvn_general_kernelILj512ELj32EfEEvi20rocsparse_direction_NS_24const_host_device_scalarIT1_EEPKiS6_PKS3_iiS8_S4_PS3_21rocsparse_index_base_b.numbered_sgpr, 40
	.set _ZN9rocsparseL23gebsrmvn_general_kernelILj512ELj32EfEEvi20rocsparse_direction_NS_24const_host_device_scalarIT1_EEPKiS6_PKS3_iiS8_S4_PS3_21rocsparse_index_base_b.num_named_barrier, 0
	.set _ZN9rocsparseL23gebsrmvn_general_kernelILj512ELj32EfEEvi20rocsparse_direction_NS_24const_host_device_scalarIT1_EEPKiS6_PKS3_iiS8_S4_PS3_21rocsparse_index_base_b.private_seg_size, 0
	.set _ZN9rocsparseL23gebsrmvn_general_kernelILj512ELj32EfEEvi20rocsparse_direction_NS_24const_host_device_scalarIT1_EEPKiS6_PKS3_iiS8_S4_PS3_21rocsparse_index_base_b.uses_vcc, 1
	.set _ZN9rocsparseL23gebsrmvn_general_kernelILj512ELj32EfEEvi20rocsparse_direction_NS_24const_host_device_scalarIT1_EEPKiS6_PKS3_iiS8_S4_PS3_21rocsparse_index_base_b.uses_flat_scratch, 0
	.set _ZN9rocsparseL23gebsrmvn_general_kernelILj512ELj32EfEEvi20rocsparse_direction_NS_24const_host_device_scalarIT1_EEPKiS6_PKS3_iiS8_S4_PS3_21rocsparse_index_base_b.has_dyn_sized_stack, 0
	.set _ZN9rocsparseL23gebsrmvn_general_kernelILj512ELj32EfEEvi20rocsparse_direction_NS_24const_host_device_scalarIT1_EEPKiS6_PKS3_iiS8_S4_PS3_21rocsparse_index_base_b.has_recursion, 0
	.set _ZN9rocsparseL23gebsrmvn_general_kernelILj512ELj32EfEEvi20rocsparse_direction_NS_24const_host_device_scalarIT1_EEPKiS6_PKS3_iiS8_S4_PS3_21rocsparse_index_base_b.has_indirect_call, 0
	.section	.AMDGPU.csdata,"",@progbits
; Kernel info:
; codeLenInByte = 776
; TotalNumSgprs: 44
; NumVgprs: 10
; ScratchSize: 0
; MemoryBound: 0
; FloatMode: 240
; IeeeMode: 1
; LDSByteSize: 0 bytes/workgroup (compile time only)
; SGPRBlocks: 5
; VGPRBlocks: 2
; NumSGPRsForWavesPerEU: 44
; NumVGPRsForWavesPerEU: 10
; Occupancy: 10
; WaveLimiterHint : 1
; COMPUTE_PGM_RSRC2:SCRATCH_EN: 0
; COMPUTE_PGM_RSRC2:USER_SGPR: 6
; COMPUTE_PGM_RSRC2:TRAP_HANDLER: 0
; COMPUTE_PGM_RSRC2:TGID_X_EN: 1
; COMPUTE_PGM_RSRC2:TGID_Y_EN: 0
; COMPUTE_PGM_RSRC2:TGID_Z_EN: 0
; COMPUTE_PGM_RSRC2:TIDIG_COMP_CNT: 0
	.section	.text._ZN9rocsparseL22gebsrmvn_mxn_16_kernelILj60ELj10ELj1EfEEvi20rocsparse_direction_NS_24const_host_device_scalarIT2_EEPKiS6_PKS3_iiS8_S4_PS3_21rocsparse_index_base_b,"axG",@progbits,_ZN9rocsparseL22gebsrmvn_mxn_16_kernelILj60ELj10ELj1EfEEvi20rocsparse_direction_NS_24const_host_device_scalarIT2_EEPKiS6_PKS3_iiS8_S4_PS3_21rocsparse_index_base_b,comdat
	.globl	_ZN9rocsparseL22gebsrmvn_mxn_16_kernelILj60ELj10ELj1EfEEvi20rocsparse_direction_NS_24const_host_device_scalarIT2_EEPKiS6_PKS3_iiS8_S4_PS3_21rocsparse_index_base_b ; -- Begin function _ZN9rocsparseL22gebsrmvn_mxn_16_kernelILj60ELj10ELj1EfEEvi20rocsparse_direction_NS_24const_host_device_scalarIT2_EEPKiS6_PKS3_iiS8_S4_PS3_21rocsparse_index_base_b
	.p2align	8
	.type	_ZN9rocsparseL22gebsrmvn_mxn_16_kernelILj60ELj10ELj1EfEEvi20rocsparse_direction_NS_24const_host_device_scalarIT2_EEPKiS6_PKS3_iiS8_S4_PS3_21rocsparse_index_base_b,@function
_ZN9rocsparseL22gebsrmvn_mxn_16_kernelILj60ELj10ELj1EfEEvi20rocsparse_direction_NS_24const_host_device_scalarIT2_EEPKiS6_PKS3_iiS8_S4_PS3_21rocsparse_index_base_b: ; @_ZN9rocsparseL22gebsrmvn_mxn_16_kernelILj60ELj10ELj1EfEEvi20rocsparse_direction_NS_24const_host_device_scalarIT2_EEPKiS6_PKS3_iiS8_S4_PS3_21rocsparse_index_base_b
; %bb.0:
	s_load_dwordx2 s[14:15], s[4:5], 0x48
	s_load_dwordx2 s[10:11], s[4:5], 0x8
	;; [unrolled: 1-line block ×3, first 2 shown]
	s_waitcnt lgkmcnt(0)
	s_bitcmp1_b32 s15, 0
	s_cselect_b64 s[2:3], -1, 0
	s_xor_b64 s[0:1], s[2:3], -1
	s_and_b64 vcc, exec, s[2:3]
	s_cbranch_vccnz .LBB10_2
; %bb.1:
	s_load_dword s10, s[10:11], 0x0
.LBB10_2:
	s_andn2_b64 vcc, exec, s[0:1]
	s_cbranch_vccnz .LBB10_4
; %bb.3:
	s_load_dword s8, s[8:9], 0x0
.LBB10_4:
	s_waitcnt lgkmcnt(0)
	v_cmp_eq_f32_e64 s[0:1], s10, 0
	v_cmp_eq_f32_e64 s[2:3], s8, 1.0
	s_and_b64 s[0:1], s[0:1], s[2:3]
	s_and_b64 vcc, exec, s[0:1]
	s_cbranch_vccnz .LBB10_22
; %bb.5:
	s_load_dwordx2 s[0:1], s[4:5], 0x10
	s_ashr_i32 s7, s6, 31
	s_lshl_b64 s[2:3], s[6:7], 2
	s_waitcnt lgkmcnt(0)
	s_add_u32 s0, s0, s2
	s_addc_u32 s1, s1, s3
	s_load_dwordx2 s[18:19], s[0:1], 0x0
	s_waitcnt lgkmcnt(0)
	s_cmp_lt_i32 s18, s19
	s_cbranch_scc1 .LBB10_7
; %bb.6:
	s_load_dwordx2 s[12:13], s[4:5], 0x40
	v_mov_b32_e32 v5, 0
	s_cbranch_execz .LBB10_8
	s_branch .LBB10_12
.LBB10_7:
	s_load_dwordx2 s[12:13], s[4:5], 0x40
	v_mov_b32_e32 v5, 0
.LBB10_8:
	s_load_dwordx4 s[0:3], s[4:5], 0x18
	s_load_dwordx2 s[16:17], s[4:5], 0x30
	v_mad_u64_u32 v[1:2], s[4:5], s18, 10, v[0:1]
	s_mul_i32 s4, s14, 10
	v_mov_b32_e32 v2, 0
	s_sub_i32 s7, s19, s14
	s_sub_i32 s9, s18, s14
	v_mul_u32_u24_e32 v6, 0x199a, v0
	v_subrev_u32_e32 v1, s4, v1
	v_mov_b32_e32 v5, v2
	s_branch .LBB10_10
.LBB10_9:                               ;   in Loop: Header=BB10_10 Depth=1
	s_or_b64 exec, exec, s[4:5]
	s_add_i32 s9, s9, 6
	s_cmp_ge_i32 s9, s7
	v_add_u32_e32 v1, 60, v1
	s_cbranch_scc1 .LBB10_12
.LBB10_10:                              ; =>This Inner Loop Header: Depth=1
	v_add_u32_sdwa v3, v6, s9 dst_sel:DWORD dst_unused:UNUSED_PAD src0_sel:WORD_1 src1_sel:DWORD
	v_cmp_gt_i32_e32 vcc, s7, v3
	s_and_saveexec_b64 s[4:5], vcc
	s_cbranch_execz .LBB10_9
; %bb.11:                               ;   in Loop: Header=BB10_10 Depth=1
	v_ashrrev_i32_e32 v4, 31, v3
	v_lshlrev_b64 v[3:4], 2, v[3:4]
	s_waitcnt lgkmcnt(0)
	v_mov_b32_e32 v7, s1
	v_add_co_u32_e32 v3, vcc, s0, v3
	v_addc_co_u32_e32 v4, vcc, v7, v4, vcc
	global_load_dword v7, v[3:4], off
	v_lshlrev_b64 v[3:4], 2, v[1:2]
	v_mov_b32_e32 v8, s3
	v_add_co_u32_e32 v3, vcc, s2, v3
	v_addc_co_u32_e32 v4, vcc, v8, v4, vcc
	global_load_dword v8, v[3:4], off
	v_mov_b32_e32 v9, s17
	s_waitcnt vmcnt(1)
	v_subrev_u32_e32 v3, s14, v7
	v_ashrrev_i32_e32 v4, 31, v3
	v_lshlrev_b64 v[3:4], 2, v[3:4]
	v_add_co_u32_e32 v3, vcc, s16, v3
	v_addc_co_u32_e32 v4, vcc, v9, v4, vcc
	global_load_dword v3, v[3:4], off
	s_waitcnt vmcnt(0)
	v_fmac_f32_e32 v5, v8, v3
	s_branch .LBB10_9
.LBB10_12:
	v_lshlrev_b32_e32 v1, 2, v0
	v_cmp_gt_u32_e32 vcc, 20, v0
	ds_write_b32 v1, v5
	s_waitcnt lgkmcnt(0)
	; wave barrier
	s_and_saveexec_b64 s[0:1], vcc
	s_cbranch_execz .LBB10_14
; %bb.13:
	ds_read2_b32 v[2:3], v1 offset1:40
	s_waitcnt lgkmcnt(0)
	v_add_f32_e32 v2, v3, v2
	ds_write_b32 v1, v2
.LBB10_14:
	s_or_b64 exec, exec, s[0:1]
	s_waitcnt lgkmcnt(0)
	; wave barrier
	s_and_saveexec_b64 s[0:1], vcc
	s_cbranch_execz .LBB10_16
; %bb.15:
	ds_read2_b32 v[2:3], v1 offset1:20
	s_waitcnt lgkmcnt(0)
	v_add_f32_e32 v2, v3, v2
	ds_write_b32 v1, v2
.LBB10_16:
	s_or_b64 exec, exec, s[0:1]
	v_cmp_gt_u32_e32 vcc, 10, v0
	s_waitcnt lgkmcnt(0)
	; wave barrier
	s_and_saveexec_b64 s[0:1], vcc
	s_cbranch_execz .LBB10_18
; %bb.17:
	ds_read2_b32 v[2:3], v1 offset1:10
	s_waitcnt lgkmcnt(0)
	v_add_f32_e32 v2, v3, v2
	ds_write_b32 v1, v2
.LBB10_18:
	s_or_b64 exec, exec, s[0:1]
	s_waitcnt lgkmcnt(0)
	; wave barrier
	s_and_saveexec_b64 s[0:1], vcc
	s_cbranch_execz .LBB10_22
; %bb.19:
	ds_read_b32 v1, v1
	v_cmp_eq_f32_e64 s[0:1], s8, 0
	s_and_b64 vcc, exec, s[0:1]
	s_waitcnt lgkmcnt(0)
	v_mul_f32_e32 v1, s10, v1
	s_cbranch_vccz .LBB10_23
; %bb.20:
	v_mad_u64_u32 v[2:3], s[0:1], s6, 10, v[0:1]
	v_mov_b32_e32 v3, 0
	v_mov_b32_e32 v4, s13
	v_lshlrev_b64 v[2:3], 2, v[2:3]
	v_add_co_u32_e32 v2, vcc, s12, v2
	v_addc_co_u32_e32 v3, vcc, v4, v3, vcc
	global_store_dword v[2:3], v1, off
	s_cbranch_execnz .LBB10_22
.LBB10_21:
	v_mad_u64_u32 v[2:3], s[0:1], s6, 10, v[0:1]
	v_mov_b32_e32 v3, 0
	v_mov_b32_e32 v0, s13
	v_lshlrev_b64 v[2:3], 2, v[2:3]
	v_add_co_u32_e32 v2, vcc, s12, v2
	v_addc_co_u32_e32 v3, vcc, v0, v3, vcc
	global_load_dword v0, v[2:3], off
	s_waitcnt vmcnt(0)
	v_fmac_f32_e32 v1, s8, v0
	global_store_dword v[2:3], v1, off
.LBB10_22:
	s_endpgm
.LBB10_23:
	s_branch .LBB10_21
	.section	.rodata,"a",@progbits
	.p2align	6, 0x0
	.amdhsa_kernel _ZN9rocsparseL22gebsrmvn_mxn_16_kernelILj60ELj10ELj1EfEEvi20rocsparse_direction_NS_24const_host_device_scalarIT2_EEPKiS6_PKS3_iiS8_S4_PS3_21rocsparse_index_base_b
		.amdhsa_group_segment_fixed_size 240
		.amdhsa_private_segment_fixed_size 0
		.amdhsa_kernarg_size 80
		.amdhsa_user_sgpr_count 6
		.amdhsa_user_sgpr_private_segment_buffer 1
		.amdhsa_user_sgpr_dispatch_ptr 0
		.amdhsa_user_sgpr_queue_ptr 0
		.amdhsa_user_sgpr_kernarg_segment_ptr 1
		.amdhsa_user_sgpr_dispatch_id 0
		.amdhsa_user_sgpr_flat_scratch_init 0
		.amdhsa_user_sgpr_private_segment_size 0
		.amdhsa_uses_dynamic_stack 0
		.amdhsa_system_sgpr_private_segment_wavefront_offset 0
		.amdhsa_system_sgpr_workgroup_id_x 1
		.amdhsa_system_sgpr_workgroup_id_y 0
		.amdhsa_system_sgpr_workgroup_id_z 0
		.amdhsa_system_sgpr_workgroup_info 0
		.amdhsa_system_vgpr_workitem_id 0
		.amdhsa_next_free_vgpr 10
		.amdhsa_next_free_sgpr 20
		.amdhsa_reserve_vcc 1
		.amdhsa_reserve_flat_scratch 0
		.amdhsa_float_round_mode_32 0
		.amdhsa_float_round_mode_16_64 0
		.amdhsa_float_denorm_mode_32 3
		.amdhsa_float_denorm_mode_16_64 3
		.amdhsa_dx10_clamp 1
		.amdhsa_ieee_mode 1
		.amdhsa_fp16_overflow 0
		.amdhsa_exception_fp_ieee_invalid_op 0
		.amdhsa_exception_fp_denorm_src 0
		.amdhsa_exception_fp_ieee_div_zero 0
		.amdhsa_exception_fp_ieee_overflow 0
		.amdhsa_exception_fp_ieee_underflow 0
		.amdhsa_exception_fp_ieee_inexact 0
		.amdhsa_exception_int_div_zero 0
	.end_amdhsa_kernel
	.section	.text._ZN9rocsparseL22gebsrmvn_mxn_16_kernelILj60ELj10ELj1EfEEvi20rocsparse_direction_NS_24const_host_device_scalarIT2_EEPKiS6_PKS3_iiS8_S4_PS3_21rocsparse_index_base_b,"axG",@progbits,_ZN9rocsparseL22gebsrmvn_mxn_16_kernelILj60ELj10ELj1EfEEvi20rocsparse_direction_NS_24const_host_device_scalarIT2_EEPKiS6_PKS3_iiS8_S4_PS3_21rocsparse_index_base_b,comdat
.Lfunc_end10:
	.size	_ZN9rocsparseL22gebsrmvn_mxn_16_kernelILj60ELj10ELj1EfEEvi20rocsparse_direction_NS_24const_host_device_scalarIT2_EEPKiS6_PKS3_iiS8_S4_PS3_21rocsparse_index_base_b, .Lfunc_end10-_ZN9rocsparseL22gebsrmvn_mxn_16_kernelILj60ELj10ELj1EfEEvi20rocsparse_direction_NS_24const_host_device_scalarIT2_EEPKiS6_PKS3_iiS8_S4_PS3_21rocsparse_index_base_b
                                        ; -- End function
	.set _ZN9rocsparseL22gebsrmvn_mxn_16_kernelILj60ELj10ELj1EfEEvi20rocsparse_direction_NS_24const_host_device_scalarIT2_EEPKiS6_PKS3_iiS8_S4_PS3_21rocsparse_index_base_b.num_vgpr, 10
	.set _ZN9rocsparseL22gebsrmvn_mxn_16_kernelILj60ELj10ELj1EfEEvi20rocsparse_direction_NS_24const_host_device_scalarIT2_EEPKiS6_PKS3_iiS8_S4_PS3_21rocsparse_index_base_b.num_agpr, 0
	.set _ZN9rocsparseL22gebsrmvn_mxn_16_kernelILj60ELj10ELj1EfEEvi20rocsparse_direction_NS_24const_host_device_scalarIT2_EEPKiS6_PKS3_iiS8_S4_PS3_21rocsparse_index_base_b.numbered_sgpr, 20
	.set _ZN9rocsparseL22gebsrmvn_mxn_16_kernelILj60ELj10ELj1EfEEvi20rocsparse_direction_NS_24const_host_device_scalarIT2_EEPKiS6_PKS3_iiS8_S4_PS3_21rocsparse_index_base_b.num_named_barrier, 0
	.set _ZN9rocsparseL22gebsrmvn_mxn_16_kernelILj60ELj10ELj1EfEEvi20rocsparse_direction_NS_24const_host_device_scalarIT2_EEPKiS6_PKS3_iiS8_S4_PS3_21rocsparse_index_base_b.private_seg_size, 0
	.set _ZN9rocsparseL22gebsrmvn_mxn_16_kernelILj60ELj10ELj1EfEEvi20rocsparse_direction_NS_24const_host_device_scalarIT2_EEPKiS6_PKS3_iiS8_S4_PS3_21rocsparse_index_base_b.uses_vcc, 1
	.set _ZN9rocsparseL22gebsrmvn_mxn_16_kernelILj60ELj10ELj1EfEEvi20rocsparse_direction_NS_24const_host_device_scalarIT2_EEPKiS6_PKS3_iiS8_S4_PS3_21rocsparse_index_base_b.uses_flat_scratch, 0
	.set _ZN9rocsparseL22gebsrmvn_mxn_16_kernelILj60ELj10ELj1EfEEvi20rocsparse_direction_NS_24const_host_device_scalarIT2_EEPKiS6_PKS3_iiS8_S4_PS3_21rocsparse_index_base_b.has_dyn_sized_stack, 0
	.set _ZN9rocsparseL22gebsrmvn_mxn_16_kernelILj60ELj10ELj1EfEEvi20rocsparse_direction_NS_24const_host_device_scalarIT2_EEPKiS6_PKS3_iiS8_S4_PS3_21rocsparse_index_base_b.has_recursion, 0
	.set _ZN9rocsparseL22gebsrmvn_mxn_16_kernelILj60ELj10ELj1EfEEvi20rocsparse_direction_NS_24const_host_device_scalarIT2_EEPKiS6_PKS3_iiS8_S4_PS3_21rocsparse_index_base_b.has_indirect_call, 0
	.section	.AMDGPU.csdata,"",@progbits
; Kernel info:
; codeLenInByte = 692
; TotalNumSgprs: 24
; NumVgprs: 10
; ScratchSize: 0
; MemoryBound: 0
; FloatMode: 240
; IeeeMode: 1
; LDSByteSize: 240 bytes/workgroup (compile time only)
; SGPRBlocks: 2
; VGPRBlocks: 2
; NumSGPRsForWavesPerEU: 24
; NumVGPRsForWavesPerEU: 10
; Occupancy: 10
; WaveLimiterHint : 1
; COMPUTE_PGM_RSRC2:SCRATCH_EN: 0
; COMPUTE_PGM_RSRC2:USER_SGPR: 6
; COMPUTE_PGM_RSRC2:TRAP_HANDLER: 0
; COMPUTE_PGM_RSRC2:TGID_X_EN: 1
; COMPUTE_PGM_RSRC2:TGID_Y_EN: 0
; COMPUTE_PGM_RSRC2:TGID_Z_EN: 0
; COMPUTE_PGM_RSRC2:TIDIG_COMP_CNT: 0
	.section	.text._ZN9rocsparseL22gebsrmvn_mxn_16_kernelILj60ELj10ELj2EfEEvi20rocsparse_direction_NS_24const_host_device_scalarIT2_EEPKiS6_PKS3_iiS8_S4_PS3_21rocsparse_index_base_b,"axG",@progbits,_ZN9rocsparseL22gebsrmvn_mxn_16_kernelILj60ELj10ELj2EfEEvi20rocsparse_direction_NS_24const_host_device_scalarIT2_EEPKiS6_PKS3_iiS8_S4_PS3_21rocsparse_index_base_b,comdat
	.globl	_ZN9rocsparseL22gebsrmvn_mxn_16_kernelILj60ELj10ELj2EfEEvi20rocsparse_direction_NS_24const_host_device_scalarIT2_EEPKiS6_PKS3_iiS8_S4_PS3_21rocsparse_index_base_b ; -- Begin function _ZN9rocsparseL22gebsrmvn_mxn_16_kernelILj60ELj10ELj2EfEEvi20rocsparse_direction_NS_24const_host_device_scalarIT2_EEPKiS6_PKS3_iiS8_S4_PS3_21rocsparse_index_base_b
	.p2align	8
	.type	_ZN9rocsparseL22gebsrmvn_mxn_16_kernelILj60ELj10ELj2EfEEvi20rocsparse_direction_NS_24const_host_device_scalarIT2_EEPKiS6_PKS3_iiS8_S4_PS3_21rocsparse_index_base_b,@function
_ZN9rocsparseL22gebsrmvn_mxn_16_kernelILj60ELj10ELj2EfEEvi20rocsparse_direction_NS_24const_host_device_scalarIT2_EEPKiS6_PKS3_iiS8_S4_PS3_21rocsparse_index_base_b: ; @_ZN9rocsparseL22gebsrmvn_mxn_16_kernelILj60ELj10ELj2EfEEvi20rocsparse_direction_NS_24const_host_device_scalarIT2_EEPKiS6_PKS3_iiS8_S4_PS3_21rocsparse_index_base_b
; %bb.0:
	s_load_dwordx2 s[14:15], s[4:5], 0x48
	s_load_dwordx2 s[10:11], s[4:5], 0x8
	;; [unrolled: 1-line block ×3, first 2 shown]
	s_waitcnt lgkmcnt(0)
	s_bitcmp1_b32 s15, 0
	s_cselect_b64 s[2:3], -1, 0
	s_xor_b64 s[0:1], s[2:3], -1
	s_and_b64 vcc, exec, s[2:3]
	s_cbranch_vccnz .LBB11_2
; %bb.1:
	s_load_dword s10, s[10:11], 0x0
.LBB11_2:
	s_andn2_b64 vcc, exec, s[0:1]
	s_cbranch_vccnz .LBB11_4
; %bb.3:
	s_load_dword s8, s[8:9], 0x0
.LBB11_4:
	s_waitcnt lgkmcnt(0)
	v_cmp_eq_f32_e64 s[0:1], s10, 0
	v_cmp_eq_f32_e64 s[2:3], s8, 1.0
	s_and_b64 s[0:1], s[0:1], s[2:3]
	s_and_b64 vcc, exec, s[0:1]
	s_cbranch_vccnz .LBB11_32
; %bb.5:
	s_load_dword s2, s[4:5], 0x4
	s_load_dwordx2 s[0:1], s[4:5], 0x10
	v_and_b32_e32 v6, 1, v0
	v_mov_b32_e32 v7, v6
	s_waitcnt lgkmcnt(0)
	s_cmp_lg_u32 s2, 1
	s_cselect_b64 s[16:17], -1, 0
	s_and_b64 vcc, exec, s[16:17]
	s_cbranch_vccnz .LBB11_7
; %bb.6:
	v_mul_u32_u24_e32 v1, 0x199a, v0
	v_bfe_u32 v7, v1, 16, 1
.LBB11_7:
	s_ashr_i32 s7, s6, 31
	s_lshl_b64 s[2:3], s[6:7], 2
	s_add_u32 s0, s0, s2
	s_addc_u32 s1, s1, s3
	s_load_dwordx2 s[20:21], s[0:1], 0x0
	s_load_dwordx2 s[12:13], s[4:5], 0x40
	v_mov_b32_e32 v5, 0
	s_waitcnt lgkmcnt(0)
	s_cmp_ge_i32 s20, s21
	s_cbranch_scc1 .LBB11_12
; %bb.8:
	s_load_dwordx4 s[0:3], s[4:5], 0x18
	s_load_dwordx2 s[18:19], s[4:5], 0x30
	v_mad_u64_u32 v[1:2], s[4:5], s20, 20, v[0:1]
	s_mul_i32 s4, s14, 20
	v_mov_b32_e32 v2, 0
	s_sub_i32 s7, s21, s14
	s_sub_i32 s9, s20, s14
	v_mul_u32_u24_e32 v8, 0xccd, v0
	v_subrev_u32_e32 v1, s4, v1
	v_mov_b32_e32 v5, v2
	s_branch .LBB11_10
.LBB11_9:                               ;   in Loop: Header=BB11_10 Depth=1
	s_or_b64 exec, exec, s[4:5]
	s_add_i32 s9, s9, 3
	s_cmp_ge_i32 s9, s7
	v_add_u32_e32 v1, 60, v1
	s_cbranch_scc1 .LBB11_12
.LBB11_10:                              ; =>This Inner Loop Header: Depth=1
	v_add_u32_sdwa v3, v8, s9 dst_sel:DWORD dst_unused:UNUSED_PAD src0_sel:WORD_1 src1_sel:DWORD
	v_cmp_gt_i32_e32 vcc, s7, v3
	s_and_saveexec_b64 s[4:5], vcc
	s_cbranch_execz .LBB11_9
; %bb.11:                               ;   in Loop: Header=BB11_10 Depth=1
	v_ashrrev_i32_e32 v4, 31, v3
	v_lshlrev_b64 v[3:4], 2, v[3:4]
	s_waitcnt lgkmcnt(0)
	v_mov_b32_e32 v9, s1
	v_add_co_u32_e32 v3, vcc, s0, v3
	v_addc_co_u32_e32 v4, vcc, v9, v4, vcc
	global_load_dword v9, v[3:4], off
	v_lshlrev_b64 v[3:4], 2, v[1:2]
	v_mov_b32_e32 v10, s3
	v_add_co_u32_e32 v3, vcc, s2, v3
	v_addc_co_u32_e32 v4, vcc, v10, v4, vcc
	global_load_dword v10, v[3:4], off
	v_mov_b32_e32 v11, s19
	s_waitcnt vmcnt(1)
	v_subrev_u32_e32 v3, s14, v9
	v_lshl_or_b32 v3, v3, 1, v7
	v_ashrrev_i32_e32 v4, 31, v3
	v_lshlrev_b64 v[3:4], 2, v[3:4]
	v_add_co_u32_e32 v3, vcc, s18, v3
	v_addc_co_u32_e32 v4, vcc, v11, v4, vcc
	global_load_dword v3, v[3:4], off
	s_waitcnt vmcnt(0)
	v_fmac_f32_e32 v5, v10, v3
	s_branch .LBB11_9
.LBB11_12:
	v_lshlrev_b32_e32 v1, 2, v0
	v_cmp_gt_u32_e32 vcc, 20, v0
	ds_write_b32 v1, v5
	s_waitcnt lgkmcnt(0)
	; wave barrier
	s_and_saveexec_b64 s[0:1], vcc
	s_cbranch_execz .LBB11_14
; %bb.13:
	ds_read2_b32 v[2:3], v1 offset1:40
	s_waitcnt lgkmcnt(0)
	v_add_f32_e32 v2, v3, v2
	ds_write_b32 v1, v2
.LBB11_14:
	s_or_b64 exec, exec, s[0:1]
	s_waitcnt lgkmcnt(0)
	; wave barrier
	s_and_saveexec_b64 s[0:1], vcc
	s_cbranch_execz .LBB11_16
; %bb.15:
	ds_read2_b32 v[2:3], v1 offset1:20
	s_waitcnt lgkmcnt(0)
	v_add_f32_e32 v2, v3, v2
	ds_write_b32 v1, v2
.LBB11_16:
	s_or_b64 exec, exec, s[0:1]
	s_and_b64 vcc, exec, s[16:17]
	s_waitcnt lgkmcnt(0)
	; wave barrier
	s_cbranch_vccz .LBB11_22
; %bb.17:
	v_cmp_eq_u32_e32 vcc, 0, v6
	s_and_saveexec_b64 s[0:1], vcc
	s_cbranch_execz .LBB11_19
; %bb.18:
	ds_read2_b32 v[2:3], v1 offset1:1
	s_waitcnt lgkmcnt(0)
	v_add_f32_e32 v2, v3, v2
	ds_write_b32 v1, v2
.LBB11_19:
	s_or_b64 exec, exec, s[0:1]
	v_cmp_gt_u32_e32 vcc, 10, v0
	v_mov_b32_e32 v2, v5
	s_waitcnt lgkmcnt(0)
	; wave barrier
	s_and_saveexec_b64 s[0:1], vcc
; %bb.20:
	v_lshl_add_u32 v2, v0, 2, v1
	ds_read_b32 v2, v2
; %bb.21:
	s_or_b64 exec, exec, s[0:1]
	s_branch .LBB11_28
.LBB11_22:
                                        ; implicit-def: $vgpr2
	s_cbranch_execz .LBB11_28
; %bb.23:
	v_cmp_lt_u32_e32 vcc, 9, v0
	s_and_saveexec_b64 s[0:1], vcc
	s_xor_b64 s[0:1], exec, s[0:1]
	s_cbranch_execz .LBB11_25
; %bb.24:
	s_waitcnt lgkmcnt(0)
                                        ; implicit-def: $vgpr1
.LBB11_25:
	s_andn2_saveexec_b64 s[0:1], s[0:1]
	s_cbranch_execz .LBB11_27
; %bb.26:
	s_waitcnt lgkmcnt(0)
	ds_read2_b32 v[2:3], v1 offset1:10
	s_waitcnt lgkmcnt(0)
	v_add_f32_e32 v2, v3, v2
	ds_write_b32 v1, v2
	s_waitcnt lgkmcnt(0)
	ds_read_b32 v5, v1
.LBB11_27:
	s_or_b64 exec, exec, s[0:1]
	s_waitcnt lgkmcnt(0)
	v_mov_b32_e32 v2, v5
.LBB11_28:
	v_cmp_gt_u32_e32 vcc, 10, v0
	s_and_saveexec_b64 s[0:1], vcc
	s_cbranch_execz .LBB11_32
; %bb.29:
	v_cmp_eq_f32_e64 s[0:1], s8, 0
	s_and_b64 vcc, exec, s[0:1]
	s_waitcnt lgkmcnt(0)
	v_mul_f32_e32 v1, s10, v2
	s_cbranch_vccz .LBB11_33
; %bb.30:
	v_mad_u64_u32 v[2:3], s[0:1], s6, 10, v[0:1]
	v_mov_b32_e32 v3, 0
	v_mov_b32_e32 v4, s13
	v_lshlrev_b64 v[2:3], 2, v[2:3]
	v_add_co_u32_e32 v2, vcc, s12, v2
	v_addc_co_u32_e32 v3, vcc, v4, v3, vcc
	global_store_dword v[2:3], v1, off
	s_cbranch_execnz .LBB11_32
.LBB11_31:
	v_mad_u64_u32 v[2:3], s[0:1], s6, 10, v[0:1]
	v_mov_b32_e32 v3, 0
	v_mov_b32_e32 v0, s13
	v_lshlrev_b64 v[2:3], 2, v[2:3]
	v_add_co_u32_e32 v2, vcc, s12, v2
	v_addc_co_u32_e32 v3, vcc, v0, v3, vcc
	global_load_dword v0, v[2:3], off
	s_waitcnt vmcnt(0)
	v_fmac_f32_e32 v1, s8, v0
	global_store_dword v[2:3], v1, off
.LBB11_32:
	s_endpgm
.LBB11_33:
	s_branch .LBB11_31
	.section	.rodata,"a",@progbits
	.p2align	6, 0x0
	.amdhsa_kernel _ZN9rocsparseL22gebsrmvn_mxn_16_kernelILj60ELj10ELj2EfEEvi20rocsparse_direction_NS_24const_host_device_scalarIT2_EEPKiS6_PKS3_iiS8_S4_PS3_21rocsparse_index_base_b
		.amdhsa_group_segment_fixed_size 240
		.amdhsa_private_segment_fixed_size 0
		.amdhsa_kernarg_size 80
		.amdhsa_user_sgpr_count 6
		.amdhsa_user_sgpr_private_segment_buffer 1
		.amdhsa_user_sgpr_dispatch_ptr 0
		.amdhsa_user_sgpr_queue_ptr 0
		.amdhsa_user_sgpr_kernarg_segment_ptr 1
		.amdhsa_user_sgpr_dispatch_id 0
		.amdhsa_user_sgpr_flat_scratch_init 0
		.amdhsa_user_sgpr_private_segment_size 0
		.amdhsa_uses_dynamic_stack 0
		.amdhsa_system_sgpr_private_segment_wavefront_offset 0
		.amdhsa_system_sgpr_workgroup_id_x 1
		.amdhsa_system_sgpr_workgroup_id_y 0
		.amdhsa_system_sgpr_workgroup_id_z 0
		.amdhsa_system_sgpr_workgroup_info 0
		.amdhsa_system_vgpr_workitem_id 0
		.amdhsa_next_free_vgpr 12
		.amdhsa_next_free_sgpr 22
		.amdhsa_reserve_vcc 1
		.amdhsa_reserve_flat_scratch 0
		.amdhsa_float_round_mode_32 0
		.amdhsa_float_round_mode_16_64 0
		.amdhsa_float_denorm_mode_32 3
		.amdhsa_float_denorm_mode_16_64 3
		.amdhsa_dx10_clamp 1
		.amdhsa_ieee_mode 1
		.amdhsa_fp16_overflow 0
		.amdhsa_exception_fp_ieee_invalid_op 0
		.amdhsa_exception_fp_denorm_src 0
		.amdhsa_exception_fp_ieee_div_zero 0
		.amdhsa_exception_fp_ieee_overflow 0
		.amdhsa_exception_fp_ieee_underflow 0
		.amdhsa_exception_fp_ieee_inexact 0
		.amdhsa_exception_int_div_zero 0
	.end_amdhsa_kernel
	.section	.text._ZN9rocsparseL22gebsrmvn_mxn_16_kernelILj60ELj10ELj2EfEEvi20rocsparse_direction_NS_24const_host_device_scalarIT2_EEPKiS6_PKS3_iiS8_S4_PS3_21rocsparse_index_base_b,"axG",@progbits,_ZN9rocsparseL22gebsrmvn_mxn_16_kernelILj60ELj10ELj2EfEEvi20rocsparse_direction_NS_24const_host_device_scalarIT2_EEPKiS6_PKS3_iiS8_S4_PS3_21rocsparse_index_base_b,comdat
.Lfunc_end11:
	.size	_ZN9rocsparseL22gebsrmvn_mxn_16_kernelILj60ELj10ELj2EfEEvi20rocsparse_direction_NS_24const_host_device_scalarIT2_EEPKiS6_PKS3_iiS8_S4_PS3_21rocsparse_index_base_b, .Lfunc_end11-_ZN9rocsparseL22gebsrmvn_mxn_16_kernelILj60ELj10ELj2EfEEvi20rocsparse_direction_NS_24const_host_device_scalarIT2_EEPKiS6_PKS3_iiS8_S4_PS3_21rocsparse_index_base_b
                                        ; -- End function
	.set _ZN9rocsparseL22gebsrmvn_mxn_16_kernelILj60ELj10ELj2EfEEvi20rocsparse_direction_NS_24const_host_device_scalarIT2_EEPKiS6_PKS3_iiS8_S4_PS3_21rocsparse_index_base_b.num_vgpr, 12
	.set _ZN9rocsparseL22gebsrmvn_mxn_16_kernelILj60ELj10ELj2EfEEvi20rocsparse_direction_NS_24const_host_device_scalarIT2_EEPKiS6_PKS3_iiS8_S4_PS3_21rocsparse_index_base_b.num_agpr, 0
	.set _ZN9rocsparseL22gebsrmvn_mxn_16_kernelILj60ELj10ELj2EfEEvi20rocsparse_direction_NS_24const_host_device_scalarIT2_EEPKiS6_PKS3_iiS8_S4_PS3_21rocsparse_index_base_b.numbered_sgpr, 22
	.set _ZN9rocsparseL22gebsrmvn_mxn_16_kernelILj60ELj10ELj2EfEEvi20rocsparse_direction_NS_24const_host_device_scalarIT2_EEPKiS6_PKS3_iiS8_S4_PS3_21rocsparse_index_base_b.num_named_barrier, 0
	.set _ZN9rocsparseL22gebsrmvn_mxn_16_kernelILj60ELj10ELj2EfEEvi20rocsparse_direction_NS_24const_host_device_scalarIT2_EEPKiS6_PKS3_iiS8_S4_PS3_21rocsparse_index_base_b.private_seg_size, 0
	.set _ZN9rocsparseL22gebsrmvn_mxn_16_kernelILj60ELj10ELj2EfEEvi20rocsparse_direction_NS_24const_host_device_scalarIT2_EEPKiS6_PKS3_iiS8_S4_PS3_21rocsparse_index_base_b.uses_vcc, 1
	.set _ZN9rocsparseL22gebsrmvn_mxn_16_kernelILj60ELj10ELj2EfEEvi20rocsparse_direction_NS_24const_host_device_scalarIT2_EEPKiS6_PKS3_iiS8_S4_PS3_21rocsparse_index_base_b.uses_flat_scratch, 0
	.set _ZN9rocsparseL22gebsrmvn_mxn_16_kernelILj60ELj10ELj2EfEEvi20rocsparse_direction_NS_24const_host_device_scalarIT2_EEPKiS6_PKS3_iiS8_S4_PS3_21rocsparse_index_base_b.has_dyn_sized_stack, 0
	.set _ZN9rocsparseL22gebsrmvn_mxn_16_kernelILj60ELj10ELj2EfEEvi20rocsparse_direction_NS_24const_host_device_scalarIT2_EEPKiS6_PKS3_iiS8_S4_PS3_21rocsparse_index_base_b.has_recursion, 0
	.set _ZN9rocsparseL22gebsrmvn_mxn_16_kernelILj60ELj10ELj2EfEEvi20rocsparse_direction_NS_24const_host_device_scalarIT2_EEPKiS6_PKS3_iiS8_S4_PS3_21rocsparse_index_base_b.has_indirect_call, 0
	.section	.AMDGPU.csdata,"",@progbits
; Kernel info:
; codeLenInByte = 852
; TotalNumSgprs: 26
; NumVgprs: 12
; ScratchSize: 0
; MemoryBound: 0
; FloatMode: 240
; IeeeMode: 1
; LDSByteSize: 240 bytes/workgroup (compile time only)
; SGPRBlocks: 3
; VGPRBlocks: 2
; NumSGPRsForWavesPerEU: 26
; NumVGPRsForWavesPerEU: 12
; Occupancy: 10
; WaveLimiterHint : 1
; COMPUTE_PGM_RSRC2:SCRATCH_EN: 0
; COMPUTE_PGM_RSRC2:USER_SGPR: 6
; COMPUTE_PGM_RSRC2:TRAP_HANDLER: 0
; COMPUTE_PGM_RSRC2:TGID_X_EN: 1
; COMPUTE_PGM_RSRC2:TGID_Y_EN: 0
; COMPUTE_PGM_RSRC2:TGID_Z_EN: 0
; COMPUTE_PGM_RSRC2:TIDIG_COMP_CNT: 0
	.section	.text._ZN9rocsparseL22gebsrmvn_mxn_16_kernelILj60ELj10ELj3EfEEvi20rocsparse_direction_NS_24const_host_device_scalarIT2_EEPKiS6_PKS3_iiS8_S4_PS3_21rocsparse_index_base_b,"axG",@progbits,_ZN9rocsparseL22gebsrmvn_mxn_16_kernelILj60ELj10ELj3EfEEvi20rocsparse_direction_NS_24const_host_device_scalarIT2_EEPKiS6_PKS3_iiS8_S4_PS3_21rocsparse_index_base_b,comdat
	.globl	_ZN9rocsparseL22gebsrmvn_mxn_16_kernelILj60ELj10ELj3EfEEvi20rocsparse_direction_NS_24const_host_device_scalarIT2_EEPKiS6_PKS3_iiS8_S4_PS3_21rocsparse_index_base_b ; -- Begin function _ZN9rocsparseL22gebsrmvn_mxn_16_kernelILj60ELj10ELj3EfEEvi20rocsparse_direction_NS_24const_host_device_scalarIT2_EEPKiS6_PKS3_iiS8_S4_PS3_21rocsparse_index_base_b
	.p2align	8
	.type	_ZN9rocsparseL22gebsrmvn_mxn_16_kernelILj60ELj10ELj3EfEEvi20rocsparse_direction_NS_24const_host_device_scalarIT2_EEPKiS6_PKS3_iiS8_S4_PS3_21rocsparse_index_base_b,@function
_ZN9rocsparseL22gebsrmvn_mxn_16_kernelILj60ELj10ELj3EfEEvi20rocsparse_direction_NS_24const_host_device_scalarIT2_EEPKiS6_PKS3_iiS8_S4_PS3_21rocsparse_index_base_b: ; @_ZN9rocsparseL22gebsrmvn_mxn_16_kernelILj60ELj10ELj3EfEEvi20rocsparse_direction_NS_24const_host_device_scalarIT2_EEPKiS6_PKS3_iiS8_S4_PS3_21rocsparse_index_base_b
; %bb.0:
	s_load_dwordx2 s[14:15], s[4:5], 0x48
	s_load_dwordx2 s[10:11], s[4:5], 0x8
	s_load_dwordx2 s[8:9], s[4:5], 0x38
	s_waitcnt lgkmcnt(0)
	s_bitcmp1_b32 s15, 0
	s_cselect_b64 s[2:3], -1, 0
	s_xor_b64 s[0:1], s[2:3], -1
	s_and_b64 vcc, exec, s[2:3]
	s_cbranch_vccnz .LBB12_2
; %bb.1:
	s_load_dword s10, s[10:11], 0x0
.LBB12_2:
	s_andn2_b64 vcc, exec, s[0:1]
	s_cbranch_vccnz .LBB12_4
; %bb.3:
	s_load_dword s8, s[8:9], 0x0
.LBB12_4:
	s_waitcnt lgkmcnt(0)
	v_cmp_eq_f32_e64 s[0:1], s10, 0
	v_cmp_eq_f32_e64 s[2:3], s8, 1.0
	s_and_b64 s[0:1], s[0:1], s[2:3]
	s_and_b64 vcc, exec, s[0:1]
	s_cbranch_vccnz .LBB12_34
; %bb.5:
	s_load_dwordx2 s[0:1], s[4:5], 0x10
	s_load_dword s2, s[4:5], 0x4
	v_mul_u32_u24_e32 v1, 0x5556, v0
	v_mov_b32_e32 v2, 3
	v_mul_lo_u16_sdwa v1, v1, v2 dst_sel:DWORD dst_unused:UNUSED_PAD src0_sel:WORD_1 src1_sel:DWORD
	v_sub_u16_e32 v7, v0, v1
	s_waitcnt lgkmcnt(0)
	s_cmp_lg_u32 s2, 1
	s_cselect_b64 s[16:17], -1, 0
	s_and_b64 vcc, exec, s[16:17]
	v_mov_b32_e32 v1, v7
	s_cbranch_vccnz .LBB12_7
; %bb.6:
	s_movk_i32 s2, 0x199a
	v_mul_u32_u24_sdwa v1, v0, s2 dst_sel:DWORD dst_unused:UNUSED_PAD src0_sel:WORD_0 src1_sel:DWORD
	s_movk_i32 s2, 0x56
	v_mul_lo_u16_sdwa v3, v1, s2 dst_sel:DWORD dst_unused:UNUSED_PAD src0_sel:WORD_1 src1_sel:DWORD
	v_mul_lo_u16_sdwa v2, v3, v2 dst_sel:DWORD dst_unused:UNUSED_PAD src0_sel:BYTE_1 src1_sel:DWORD
	v_sub_u16_sdwa v1, v1, v2 dst_sel:DWORD dst_unused:UNUSED_PAD src0_sel:WORD_1 src1_sel:DWORD
	v_and_b32_e32 v1, 0xff, v1
.LBB12_7:
	s_ashr_i32 s7, s6, 31
	s_lshl_b64 s[2:3], s[6:7], 2
	s_add_u32 s0, s0, s2
	s_addc_u32 s1, s1, s3
	s_load_dwordx2 s[20:21], s[0:1], 0x0
	s_load_dwordx2 s[12:13], s[4:5], 0x40
	v_mov_b32_e32 v6, 0
	s_waitcnt lgkmcnt(0)
	s_cmp_ge_i32 s20, s21
	s_cbranch_scc1 .LBB12_12
; %bb.8:
	s_load_dwordx4 s[0:3], s[4:5], 0x18
	s_load_dwordx2 s[18:19], s[4:5], 0x30
	v_mad_u64_u32 v[2:3], s[4:5], s20, 30, v[0:1]
	s_movk_i32 s4, 0x889
	v_mul_u32_u24_sdwa v8, v0, s4 dst_sel:DWORD dst_unused:UNUSED_PAD src0_sel:WORD_0 src1_sel:DWORD
	s_mul_i32 s4, s14, 30
	v_mov_b32_e32 v3, 0
	s_sub_i32 s7, s21, s14
	s_sub_i32 s9, s20, s14
	v_subrev_u32_e32 v2, s4, v2
	v_mov_b32_e32 v6, v3
	s_branch .LBB12_10
.LBB12_9:                               ;   in Loop: Header=BB12_10 Depth=1
	s_or_b64 exec, exec, s[4:5]
	s_add_i32 s9, s9, 2
	s_cmp_ge_i32 s9, s7
	v_add_u32_e32 v2, 60, v2
	s_cbranch_scc1 .LBB12_12
.LBB12_10:                              ; =>This Inner Loop Header: Depth=1
	v_add_u32_sdwa v4, v8, s9 dst_sel:DWORD dst_unused:UNUSED_PAD src0_sel:WORD_1 src1_sel:DWORD
	v_cmp_gt_i32_e32 vcc, s7, v4
	s_and_saveexec_b64 s[4:5], vcc
	s_cbranch_execz .LBB12_9
; %bb.11:                               ;   in Loop: Header=BB12_10 Depth=1
	v_ashrrev_i32_e32 v5, 31, v4
	v_lshlrev_b64 v[4:5], 2, v[4:5]
	s_waitcnt lgkmcnt(0)
	v_mov_b32_e32 v9, s1
	v_add_co_u32_e32 v4, vcc, s0, v4
	v_addc_co_u32_e32 v5, vcc, v9, v5, vcc
	global_load_dword v9, v[4:5], off
	v_lshlrev_b64 v[4:5], 2, v[2:3]
	v_mov_b32_e32 v11, s3
	v_add_co_u32_e32 v4, vcc, s2, v4
	v_addc_co_u32_e32 v5, vcc, v11, v5, vcc
	global_load_dword v11, v[4:5], off
	v_mov_b32_e32 v12, s19
	s_waitcnt vmcnt(1)
	v_subrev_u32_e32 v9, s14, v9
	v_mad_u64_u32 v[9:10], s[20:21], v9, 3, v[1:2]
	v_ashrrev_i32_e32 v10, 31, v9
	v_lshlrev_b64 v[4:5], 2, v[9:10]
	v_add_co_u32_e32 v4, vcc, s18, v4
	v_addc_co_u32_e32 v5, vcc, v12, v5, vcc
	global_load_dword v4, v[4:5], off
	s_waitcnt vmcnt(0)
	v_fmac_f32_e32 v6, v11, v4
	s_branch .LBB12_9
.LBB12_12:
	v_lshlrev_b32_e32 v1, 2, v0
	v_cmp_gt_u32_e32 vcc, 30, v0
	ds_write_b32 v1, v6
	s_waitcnt lgkmcnt(0)
	; wave barrier
	s_and_saveexec_b64 s[0:1], vcc
	s_cbranch_execz .LBB12_14
; %bb.13:
	ds_read2_b32 v[2:3], v1 offset1:30
	s_waitcnt lgkmcnt(0)
	v_add_f32_e32 v2, v3, v2
	ds_write_b32 v1, v2
.LBB12_14:
	s_or_b64 exec, exec, s[0:1]
	s_and_b64 vcc, exec, s[16:17]
	s_waitcnt lgkmcnt(0)
	; wave barrier
	s_cbranch_vccz .LBB12_22
; %bb.15:
	v_cmp_eq_u16_e32 vcc, 0, v7
	s_and_saveexec_b64 s[0:1], vcc
	s_cbranch_execz .LBB12_17
; %bb.16:
	ds_read2_b32 v[2:3], v1 offset1:2
	s_waitcnt lgkmcnt(0)
	v_add_f32_e32 v2, v3, v2
	ds_write_b32 v1, v2
.LBB12_17:
	s_or_b64 exec, exec, s[0:1]
	s_waitcnt lgkmcnt(0)
	; wave barrier
	s_and_saveexec_b64 s[0:1], vcc
	s_cbranch_execz .LBB12_19
; %bb.18:
	ds_read2_b32 v[2:3], v1 offset1:1
	s_waitcnt lgkmcnt(0)
	v_add_f32_e32 v2, v3, v2
	ds_write_b32 v1, v2
.LBB12_19:
	s_or_b64 exec, exec, s[0:1]
	v_cmp_gt_u32_e32 vcc, 10, v0
	v_mov_b32_e32 v2, v6
	s_waitcnt lgkmcnt(0)
	; wave barrier
	s_and_saveexec_b64 s[0:1], vcc
; %bb.20:
	v_lshl_add_u32 v2, v0, 3, v1
	ds_read_b32 v2, v2
; %bb.21:
	s_or_b64 exec, exec, s[0:1]
	v_cmp_gt_u32_e64 s[0:1], 10, v0
	s_branch .LBB12_30
.LBB12_22:
                                        ; implicit-def: $vgpr2
	v_cmp_gt_u32_e64 s[0:1], 10, v0
	s_cbranch_execz .LBB12_30
; %bb.23:
	v_cmp_lt_u32_e32 vcc, 9, v0
	s_and_saveexec_b64 s[2:3], s[0:1]
	s_cbranch_execz .LBB12_25
; %bb.24:
	s_waitcnt lgkmcnt(0)
	ds_read2_b32 v[2:3], v1 offset1:20
	s_waitcnt lgkmcnt(0)
	v_add_f32_e32 v2, v3, v2
	ds_write_b32 v1, v2
.LBB12_25:
	s_or_b64 exec, exec, s[2:3]
	s_waitcnt lgkmcnt(0)
	; wave barrier
	s_and_saveexec_b64 s[0:1], vcc
	s_xor_b64 s[0:1], exec, s[0:1]
; %bb.26:
                                        ; implicit-def: $vgpr1
; %bb.27:
	s_andn2_saveexec_b64 s[0:1], s[0:1]
	s_cbranch_execz .LBB12_29
; %bb.28:
	ds_read2_b32 v[2:3], v1 offset1:10
	s_waitcnt lgkmcnt(0)
	v_add_f32_e32 v2, v3, v2
	ds_write_b32 v1, v2
	s_waitcnt lgkmcnt(0)
	ds_read_b32 v6, v1
.LBB12_29:
	s_or_b64 exec, exec, s[0:1]
	s_waitcnt lgkmcnt(0)
	v_mov_b32_e32 v2, v6
.LBB12_30:
	v_cmp_gt_u32_e32 vcc, 10, v0
	s_and_saveexec_b64 s[0:1], vcc
	s_cbranch_execz .LBB12_34
; %bb.31:
	v_cmp_eq_f32_e64 s[0:1], s8, 0
	s_and_b64 vcc, exec, s[0:1]
	s_waitcnt lgkmcnt(0)
	v_mul_f32_e32 v1, s10, v2
	s_cbranch_vccz .LBB12_35
; %bb.32:
	v_mad_u64_u32 v[2:3], s[0:1], s6, 10, v[0:1]
	v_mov_b32_e32 v3, 0
	v_mov_b32_e32 v4, s13
	v_lshlrev_b64 v[2:3], 2, v[2:3]
	v_add_co_u32_e32 v2, vcc, s12, v2
	v_addc_co_u32_e32 v3, vcc, v4, v3, vcc
	global_store_dword v[2:3], v1, off
	s_cbranch_execnz .LBB12_34
.LBB12_33:
	v_mad_u64_u32 v[2:3], s[0:1], s6, 10, v[0:1]
	v_mov_b32_e32 v3, 0
	v_mov_b32_e32 v0, s13
	v_lshlrev_b64 v[2:3], 2, v[2:3]
	v_add_co_u32_e32 v2, vcc, s12, v2
	v_addc_co_u32_e32 v3, vcc, v0, v3, vcc
	global_load_dword v0, v[2:3], off
	s_waitcnt vmcnt(0)
	v_fmac_f32_e32 v1, s8, v0
	global_store_dword v[2:3], v1, off
.LBB12_34:
	s_endpgm
.LBB12_35:
	s_branch .LBB12_33
	.section	.rodata,"a",@progbits
	.p2align	6, 0x0
	.amdhsa_kernel _ZN9rocsparseL22gebsrmvn_mxn_16_kernelILj60ELj10ELj3EfEEvi20rocsparse_direction_NS_24const_host_device_scalarIT2_EEPKiS6_PKS3_iiS8_S4_PS3_21rocsparse_index_base_b
		.amdhsa_group_segment_fixed_size 240
		.amdhsa_private_segment_fixed_size 0
		.amdhsa_kernarg_size 80
		.amdhsa_user_sgpr_count 6
		.amdhsa_user_sgpr_private_segment_buffer 1
		.amdhsa_user_sgpr_dispatch_ptr 0
		.amdhsa_user_sgpr_queue_ptr 0
		.amdhsa_user_sgpr_kernarg_segment_ptr 1
		.amdhsa_user_sgpr_dispatch_id 0
		.amdhsa_user_sgpr_flat_scratch_init 0
		.amdhsa_user_sgpr_private_segment_size 0
		.amdhsa_uses_dynamic_stack 0
		.amdhsa_system_sgpr_private_segment_wavefront_offset 0
		.amdhsa_system_sgpr_workgroup_id_x 1
		.amdhsa_system_sgpr_workgroup_id_y 0
		.amdhsa_system_sgpr_workgroup_id_z 0
		.amdhsa_system_sgpr_workgroup_info 0
		.amdhsa_system_vgpr_workitem_id 0
		.amdhsa_next_free_vgpr 13
		.amdhsa_next_free_sgpr 22
		.amdhsa_reserve_vcc 1
		.amdhsa_reserve_flat_scratch 0
		.amdhsa_float_round_mode_32 0
		.amdhsa_float_round_mode_16_64 0
		.amdhsa_float_denorm_mode_32 3
		.amdhsa_float_denorm_mode_16_64 3
		.amdhsa_dx10_clamp 1
		.amdhsa_ieee_mode 1
		.amdhsa_fp16_overflow 0
		.amdhsa_exception_fp_ieee_invalid_op 0
		.amdhsa_exception_fp_denorm_src 0
		.amdhsa_exception_fp_ieee_div_zero 0
		.amdhsa_exception_fp_ieee_overflow 0
		.amdhsa_exception_fp_ieee_underflow 0
		.amdhsa_exception_fp_ieee_inexact 0
		.amdhsa_exception_int_div_zero 0
	.end_amdhsa_kernel
	.section	.text._ZN9rocsparseL22gebsrmvn_mxn_16_kernelILj60ELj10ELj3EfEEvi20rocsparse_direction_NS_24const_host_device_scalarIT2_EEPKiS6_PKS3_iiS8_S4_PS3_21rocsparse_index_base_b,"axG",@progbits,_ZN9rocsparseL22gebsrmvn_mxn_16_kernelILj60ELj10ELj3EfEEvi20rocsparse_direction_NS_24const_host_device_scalarIT2_EEPKiS6_PKS3_iiS8_S4_PS3_21rocsparse_index_base_b,comdat
.Lfunc_end12:
	.size	_ZN9rocsparseL22gebsrmvn_mxn_16_kernelILj60ELj10ELj3EfEEvi20rocsparse_direction_NS_24const_host_device_scalarIT2_EEPKiS6_PKS3_iiS8_S4_PS3_21rocsparse_index_base_b, .Lfunc_end12-_ZN9rocsparseL22gebsrmvn_mxn_16_kernelILj60ELj10ELj3EfEEvi20rocsparse_direction_NS_24const_host_device_scalarIT2_EEPKiS6_PKS3_iiS8_S4_PS3_21rocsparse_index_base_b
                                        ; -- End function
	.set _ZN9rocsparseL22gebsrmvn_mxn_16_kernelILj60ELj10ELj3EfEEvi20rocsparse_direction_NS_24const_host_device_scalarIT2_EEPKiS6_PKS3_iiS8_S4_PS3_21rocsparse_index_base_b.num_vgpr, 13
	.set _ZN9rocsparseL22gebsrmvn_mxn_16_kernelILj60ELj10ELj3EfEEvi20rocsparse_direction_NS_24const_host_device_scalarIT2_EEPKiS6_PKS3_iiS8_S4_PS3_21rocsparse_index_base_b.num_agpr, 0
	.set _ZN9rocsparseL22gebsrmvn_mxn_16_kernelILj60ELj10ELj3EfEEvi20rocsparse_direction_NS_24const_host_device_scalarIT2_EEPKiS6_PKS3_iiS8_S4_PS3_21rocsparse_index_base_b.numbered_sgpr, 22
	.set _ZN9rocsparseL22gebsrmvn_mxn_16_kernelILj60ELj10ELj3EfEEvi20rocsparse_direction_NS_24const_host_device_scalarIT2_EEPKiS6_PKS3_iiS8_S4_PS3_21rocsparse_index_base_b.num_named_barrier, 0
	.set _ZN9rocsparseL22gebsrmvn_mxn_16_kernelILj60ELj10ELj3EfEEvi20rocsparse_direction_NS_24const_host_device_scalarIT2_EEPKiS6_PKS3_iiS8_S4_PS3_21rocsparse_index_base_b.private_seg_size, 0
	.set _ZN9rocsparseL22gebsrmvn_mxn_16_kernelILj60ELj10ELj3EfEEvi20rocsparse_direction_NS_24const_host_device_scalarIT2_EEPKiS6_PKS3_iiS8_S4_PS3_21rocsparse_index_base_b.uses_vcc, 1
	.set _ZN9rocsparseL22gebsrmvn_mxn_16_kernelILj60ELj10ELj3EfEEvi20rocsparse_direction_NS_24const_host_device_scalarIT2_EEPKiS6_PKS3_iiS8_S4_PS3_21rocsparse_index_base_b.uses_flat_scratch, 0
	.set _ZN9rocsparseL22gebsrmvn_mxn_16_kernelILj60ELj10ELj3EfEEvi20rocsparse_direction_NS_24const_host_device_scalarIT2_EEPKiS6_PKS3_iiS8_S4_PS3_21rocsparse_index_base_b.has_dyn_sized_stack, 0
	.set _ZN9rocsparseL22gebsrmvn_mxn_16_kernelILj60ELj10ELj3EfEEvi20rocsparse_direction_NS_24const_host_device_scalarIT2_EEPKiS6_PKS3_iiS8_S4_PS3_21rocsparse_index_base_b.has_recursion, 0
	.set _ZN9rocsparseL22gebsrmvn_mxn_16_kernelILj60ELj10ELj3EfEEvi20rocsparse_direction_NS_24const_host_device_scalarIT2_EEPKiS6_PKS3_iiS8_S4_PS3_21rocsparse_index_base_b.has_indirect_call, 0
	.section	.AMDGPU.csdata,"",@progbits
; Kernel info:
; codeLenInByte = 956
; TotalNumSgprs: 26
; NumVgprs: 13
; ScratchSize: 0
; MemoryBound: 0
; FloatMode: 240
; IeeeMode: 1
; LDSByteSize: 240 bytes/workgroup (compile time only)
; SGPRBlocks: 3
; VGPRBlocks: 3
; NumSGPRsForWavesPerEU: 26
; NumVGPRsForWavesPerEU: 13
; Occupancy: 10
; WaveLimiterHint : 1
; COMPUTE_PGM_RSRC2:SCRATCH_EN: 0
; COMPUTE_PGM_RSRC2:USER_SGPR: 6
; COMPUTE_PGM_RSRC2:TRAP_HANDLER: 0
; COMPUTE_PGM_RSRC2:TGID_X_EN: 1
; COMPUTE_PGM_RSRC2:TGID_Y_EN: 0
; COMPUTE_PGM_RSRC2:TGID_Z_EN: 0
; COMPUTE_PGM_RSRC2:TIDIG_COMP_CNT: 0
	.section	.text._ZN9rocsparseL22gebsrmvn_mxn_16_kernelILj40ELj10ELj4EfEEvi20rocsparse_direction_NS_24const_host_device_scalarIT2_EEPKiS6_PKS3_iiS8_S4_PS3_21rocsparse_index_base_b,"axG",@progbits,_ZN9rocsparseL22gebsrmvn_mxn_16_kernelILj40ELj10ELj4EfEEvi20rocsparse_direction_NS_24const_host_device_scalarIT2_EEPKiS6_PKS3_iiS8_S4_PS3_21rocsparse_index_base_b,comdat
	.globl	_ZN9rocsparseL22gebsrmvn_mxn_16_kernelILj40ELj10ELj4EfEEvi20rocsparse_direction_NS_24const_host_device_scalarIT2_EEPKiS6_PKS3_iiS8_S4_PS3_21rocsparse_index_base_b ; -- Begin function _ZN9rocsparseL22gebsrmvn_mxn_16_kernelILj40ELj10ELj4EfEEvi20rocsparse_direction_NS_24const_host_device_scalarIT2_EEPKiS6_PKS3_iiS8_S4_PS3_21rocsparse_index_base_b
	.p2align	8
	.type	_ZN9rocsparseL22gebsrmvn_mxn_16_kernelILj40ELj10ELj4EfEEvi20rocsparse_direction_NS_24const_host_device_scalarIT2_EEPKiS6_PKS3_iiS8_S4_PS3_21rocsparse_index_base_b,@function
_ZN9rocsparseL22gebsrmvn_mxn_16_kernelILj40ELj10ELj4EfEEvi20rocsparse_direction_NS_24const_host_device_scalarIT2_EEPKiS6_PKS3_iiS8_S4_PS3_21rocsparse_index_base_b: ; @_ZN9rocsparseL22gebsrmvn_mxn_16_kernelILj40ELj10ELj4EfEEvi20rocsparse_direction_NS_24const_host_device_scalarIT2_EEPKiS6_PKS3_iiS8_S4_PS3_21rocsparse_index_base_b
; %bb.0:
	s_load_dwordx2 s[14:15], s[4:5], 0x48
	s_load_dwordx2 s[10:11], s[4:5], 0x8
	;; [unrolled: 1-line block ×3, first 2 shown]
	s_waitcnt lgkmcnt(0)
	s_bitcmp1_b32 s15, 0
	s_cselect_b64 s[2:3], -1, 0
	s_xor_b64 s[0:1], s[2:3], -1
	s_and_b64 vcc, exec, s[2:3]
	s_cbranch_vccnz .LBB13_2
; %bb.1:
	s_load_dword s10, s[10:11], 0x0
.LBB13_2:
	s_andn2_b64 vcc, exec, s[0:1]
	s_cbranch_vccnz .LBB13_4
; %bb.3:
	s_load_dword s8, s[8:9], 0x0
.LBB13_4:
	s_waitcnt lgkmcnt(0)
	v_cmp_eq_f32_e64 s[0:1], s10, 0
	v_cmp_eq_f32_e64 s[2:3], s8, 1.0
	s_and_b64 s[0:1], s[0:1], s[2:3]
	s_and_b64 vcc, exec, s[0:1]
	s_cbranch_vccnz .LBB13_32
; %bb.5:
	s_load_dword s2, s[4:5], 0x4
	s_load_dwordx2 s[0:1], s[4:5], 0x10
	v_and_b32_e32 v6, 3, v0
	v_mov_b32_e32 v7, v6
	s_waitcnt lgkmcnt(0)
	s_cmp_lg_u32 s2, 1
	s_cselect_b64 s[16:17], -1, 0
	s_and_b64 vcc, exec, s[16:17]
	s_cbranch_vccnz .LBB13_7
; %bb.6:
	v_mul_u32_u24_e32 v1, 0x199a, v0
	v_bfe_u32 v7, v1, 16, 2
.LBB13_7:
	s_ashr_i32 s7, s6, 31
	s_lshl_b64 s[2:3], s[6:7], 2
	s_add_u32 s0, s0, s2
	s_addc_u32 s1, s1, s3
	s_load_dwordx2 s[20:21], s[0:1], 0x0
	s_load_dwordx2 s[12:13], s[4:5], 0x40
	v_mov_b32_e32 v5, 0
	s_waitcnt lgkmcnt(0)
	s_cmp_ge_i32 s20, s21
	s_cbranch_scc1 .LBB13_12
; %bb.8:
	s_load_dwordx4 s[0:3], s[4:5], 0x18
	s_load_dwordx2 s[18:19], s[4:5], 0x30
	v_mad_u64_u32 v[1:2], s[4:5], s20, 40, v[0:1]
	s_mul_i32 s4, s14, 40
	v_mov_b32_e32 v2, 0
	s_sub_i32 s7, s21, s14
	s_sub_i32 s9, s20, s14
	v_mul_u32_u24_e32 v8, 0x667, v0
	v_subrev_u32_e32 v1, s4, v1
	v_mov_b32_e32 v5, v2
	s_branch .LBB13_10
.LBB13_9:                               ;   in Loop: Header=BB13_10 Depth=1
	s_or_b64 exec, exec, s[4:5]
	s_add_i32 s9, s9, 1
	s_cmp_ge_i32 s9, s7
	v_add_u32_e32 v1, 40, v1
	s_cbranch_scc1 .LBB13_12
.LBB13_10:                              ; =>This Inner Loop Header: Depth=1
	v_add_u32_sdwa v3, v8, s9 dst_sel:DWORD dst_unused:UNUSED_PAD src0_sel:WORD_1 src1_sel:DWORD
	v_cmp_gt_i32_e32 vcc, s7, v3
	s_and_saveexec_b64 s[4:5], vcc
	s_cbranch_execz .LBB13_9
; %bb.11:                               ;   in Loop: Header=BB13_10 Depth=1
	v_ashrrev_i32_e32 v4, 31, v3
	v_lshlrev_b64 v[3:4], 2, v[3:4]
	s_waitcnt lgkmcnt(0)
	v_mov_b32_e32 v9, s1
	v_add_co_u32_e32 v3, vcc, s0, v3
	v_addc_co_u32_e32 v4, vcc, v9, v4, vcc
	global_load_dword v9, v[3:4], off
	v_lshlrev_b64 v[3:4], 2, v[1:2]
	v_mov_b32_e32 v10, s3
	v_add_co_u32_e32 v3, vcc, s2, v3
	v_addc_co_u32_e32 v4, vcc, v10, v4, vcc
	global_load_dword v10, v[3:4], off
	v_mov_b32_e32 v11, s19
	s_waitcnt vmcnt(1)
	v_subrev_u32_e32 v3, s14, v9
	v_lshl_or_b32 v3, v3, 2, v7
	v_ashrrev_i32_e32 v4, 31, v3
	v_lshlrev_b64 v[3:4], 2, v[3:4]
	v_add_co_u32_e32 v3, vcc, s18, v3
	v_addc_co_u32_e32 v4, vcc, v11, v4, vcc
	global_load_dword v3, v[3:4], off
	s_waitcnt vmcnt(0)
	v_fmac_f32_e32 v5, v10, v3
	s_branch .LBB13_9
.LBB13_12:
	v_lshlrev_b32_e32 v1, 2, v0
	s_and_b64 vcc, exec, s[16:17]
	ds_write_b32 v1, v5
	s_waitcnt lgkmcnt(0)
	; wave barrier
	s_cbranch_vccz .LBB13_20
; %bb.13:
	v_cmp_gt_u32_e32 vcc, 2, v6
	s_and_saveexec_b64 s[0:1], vcc
	s_cbranch_execz .LBB13_15
; %bb.14:
	ds_read2_b32 v[2:3], v1 offset1:2
	s_waitcnt lgkmcnt(0)
	v_add_f32_e32 v2, v3, v2
	ds_write_b32 v1, v2
.LBB13_15:
	s_or_b64 exec, exec, s[0:1]
	v_cmp_eq_u32_e32 vcc, 0, v6
	s_waitcnt lgkmcnt(0)
	; wave barrier
	s_and_saveexec_b64 s[0:1], vcc
	s_cbranch_execz .LBB13_17
; %bb.16:
	ds_read2_b32 v[2:3], v1 offset1:1
	s_waitcnt lgkmcnt(0)
	v_add_f32_e32 v2, v3, v2
	ds_write_b32 v1, v2
.LBB13_17:
	s_or_b64 exec, exec, s[0:1]
	v_cmp_gt_u32_e32 vcc, 10, v0
	v_mov_b32_e32 v2, v5
	s_waitcnt lgkmcnt(0)
	; wave barrier
	s_and_saveexec_b64 s[0:1], vcc
; %bb.18:
	v_mad_u32_u24 v2, v0, 12, v1
	ds_read_b32 v2, v2
; %bb.19:
	s_or_b64 exec, exec, s[0:1]
	s_branch .LBB13_28
.LBB13_20:
                                        ; implicit-def: $vgpr2
	s_cbranch_execz .LBB13_28
; %bb.21:
	v_cmp_gt_u32_e32 vcc, 20, v0
	s_and_saveexec_b64 s[0:1], vcc
	s_cbranch_execz .LBB13_23
; %bb.22:
	s_waitcnt lgkmcnt(0)
	ds_read2_b32 v[2:3], v1 offset1:20
	s_waitcnt lgkmcnt(0)
	v_add_f32_e32 v2, v3, v2
	ds_write_b32 v1, v2
.LBB13_23:
	s_or_b64 exec, exec, s[0:1]
	v_cmp_lt_u32_e32 vcc, 9, v0
	s_waitcnt lgkmcnt(0)
	s_and_saveexec_b64 s[0:1], vcc
	s_xor_b64 s[0:1], exec, s[0:1]
; %bb.24:
                                        ; implicit-def: $vgpr1
; %bb.25:
	s_andn2_saveexec_b64 s[0:1], s[0:1]
	s_cbranch_execz .LBB13_27
; %bb.26:
	ds_read2_b32 v[2:3], v1 offset1:10
	s_waitcnt lgkmcnt(0)
	v_add_f32_e32 v2, v3, v2
	ds_write_b32 v1, v2
	s_waitcnt lgkmcnt(0)
	ds_read_b32 v5, v1
.LBB13_27:
	s_or_b64 exec, exec, s[0:1]
	s_waitcnt lgkmcnt(0)
	v_mov_b32_e32 v2, v5
.LBB13_28:
	v_cmp_gt_u32_e32 vcc, 10, v0
	s_and_saveexec_b64 s[0:1], vcc
	s_cbranch_execz .LBB13_32
; %bb.29:
	v_cmp_eq_f32_e64 s[0:1], s8, 0
	s_and_b64 vcc, exec, s[0:1]
	s_waitcnt lgkmcnt(0)
	v_mul_f32_e32 v1, s10, v2
	s_cbranch_vccz .LBB13_33
; %bb.30:
	v_mad_u64_u32 v[2:3], s[0:1], s6, 10, v[0:1]
	v_mov_b32_e32 v3, 0
	v_mov_b32_e32 v4, s13
	v_lshlrev_b64 v[2:3], 2, v[2:3]
	v_add_co_u32_e32 v2, vcc, s12, v2
	v_addc_co_u32_e32 v3, vcc, v4, v3, vcc
	global_store_dword v[2:3], v1, off
	s_cbranch_execnz .LBB13_32
.LBB13_31:
	v_mad_u64_u32 v[2:3], s[0:1], s6, 10, v[0:1]
	v_mov_b32_e32 v3, 0
	v_mov_b32_e32 v0, s13
	v_lshlrev_b64 v[2:3], 2, v[2:3]
	v_add_co_u32_e32 v2, vcc, s12, v2
	v_addc_co_u32_e32 v3, vcc, v0, v3, vcc
	global_load_dword v0, v[2:3], off
	s_waitcnt vmcnt(0)
	v_fmac_f32_e32 v1, s8, v0
	global_store_dword v[2:3], v1, off
.LBB13_32:
	s_endpgm
.LBB13_33:
	s_branch .LBB13_31
	.section	.rodata,"a",@progbits
	.p2align	6, 0x0
	.amdhsa_kernel _ZN9rocsparseL22gebsrmvn_mxn_16_kernelILj40ELj10ELj4EfEEvi20rocsparse_direction_NS_24const_host_device_scalarIT2_EEPKiS6_PKS3_iiS8_S4_PS3_21rocsparse_index_base_b
		.amdhsa_group_segment_fixed_size 160
		.amdhsa_private_segment_fixed_size 0
		.amdhsa_kernarg_size 80
		.amdhsa_user_sgpr_count 6
		.amdhsa_user_sgpr_private_segment_buffer 1
		.amdhsa_user_sgpr_dispatch_ptr 0
		.amdhsa_user_sgpr_queue_ptr 0
		.amdhsa_user_sgpr_kernarg_segment_ptr 1
		.amdhsa_user_sgpr_dispatch_id 0
		.amdhsa_user_sgpr_flat_scratch_init 0
		.amdhsa_user_sgpr_private_segment_size 0
		.amdhsa_uses_dynamic_stack 0
		.amdhsa_system_sgpr_private_segment_wavefront_offset 0
		.amdhsa_system_sgpr_workgroup_id_x 1
		.amdhsa_system_sgpr_workgroup_id_y 0
		.amdhsa_system_sgpr_workgroup_id_z 0
		.amdhsa_system_sgpr_workgroup_info 0
		.amdhsa_system_vgpr_workitem_id 0
		.amdhsa_next_free_vgpr 12
		.amdhsa_next_free_sgpr 22
		.amdhsa_reserve_vcc 1
		.amdhsa_reserve_flat_scratch 0
		.amdhsa_float_round_mode_32 0
		.amdhsa_float_round_mode_16_64 0
		.amdhsa_float_denorm_mode_32 3
		.amdhsa_float_denorm_mode_16_64 3
		.amdhsa_dx10_clamp 1
		.amdhsa_ieee_mode 1
		.amdhsa_fp16_overflow 0
		.amdhsa_exception_fp_ieee_invalid_op 0
		.amdhsa_exception_fp_denorm_src 0
		.amdhsa_exception_fp_ieee_div_zero 0
		.amdhsa_exception_fp_ieee_overflow 0
		.amdhsa_exception_fp_ieee_underflow 0
		.amdhsa_exception_fp_ieee_inexact 0
		.amdhsa_exception_int_div_zero 0
	.end_amdhsa_kernel
	.section	.text._ZN9rocsparseL22gebsrmvn_mxn_16_kernelILj40ELj10ELj4EfEEvi20rocsparse_direction_NS_24const_host_device_scalarIT2_EEPKiS6_PKS3_iiS8_S4_PS3_21rocsparse_index_base_b,"axG",@progbits,_ZN9rocsparseL22gebsrmvn_mxn_16_kernelILj40ELj10ELj4EfEEvi20rocsparse_direction_NS_24const_host_device_scalarIT2_EEPKiS6_PKS3_iiS8_S4_PS3_21rocsparse_index_base_b,comdat
.Lfunc_end13:
	.size	_ZN9rocsparseL22gebsrmvn_mxn_16_kernelILj40ELj10ELj4EfEEvi20rocsparse_direction_NS_24const_host_device_scalarIT2_EEPKiS6_PKS3_iiS8_S4_PS3_21rocsparse_index_base_b, .Lfunc_end13-_ZN9rocsparseL22gebsrmvn_mxn_16_kernelILj40ELj10ELj4EfEEvi20rocsparse_direction_NS_24const_host_device_scalarIT2_EEPKiS6_PKS3_iiS8_S4_PS3_21rocsparse_index_base_b
                                        ; -- End function
	.set _ZN9rocsparseL22gebsrmvn_mxn_16_kernelILj40ELj10ELj4EfEEvi20rocsparse_direction_NS_24const_host_device_scalarIT2_EEPKiS6_PKS3_iiS8_S4_PS3_21rocsparse_index_base_b.num_vgpr, 12
	.set _ZN9rocsparseL22gebsrmvn_mxn_16_kernelILj40ELj10ELj4EfEEvi20rocsparse_direction_NS_24const_host_device_scalarIT2_EEPKiS6_PKS3_iiS8_S4_PS3_21rocsparse_index_base_b.num_agpr, 0
	.set _ZN9rocsparseL22gebsrmvn_mxn_16_kernelILj40ELj10ELj4EfEEvi20rocsparse_direction_NS_24const_host_device_scalarIT2_EEPKiS6_PKS3_iiS8_S4_PS3_21rocsparse_index_base_b.numbered_sgpr, 22
	.set _ZN9rocsparseL22gebsrmvn_mxn_16_kernelILj40ELj10ELj4EfEEvi20rocsparse_direction_NS_24const_host_device_scalarIT2_EEPKiS6_PKS3_iiS8_S4_PS3_21rocsparse_index_base_b.num_named_barrier, 0
	.set _ZN9rocsparseL22gebsrmvn_mxn_16_kernelILj40ELj10ELj4EfEEvi20rocsparse_direction_NS_24const_host_device_scalarIT2_EEPKiS6_PKS3_iiS8_S4_PS3_21rocsparse_index_base_b.private_seg_size, 0
	.set _ZN9rocsparseL22gebsrmvn_mxn_16_kernelILj40ELj10ELj4EfEEvi20rocsparse_direction_NS_24const_host_device_scalarIT2_EEPKiS6_PKS3_iiS8_S4_PS3_21rocsparse_index_base_b.uses_vcc, 1
	.set _ZN9rocsparseL22gebsrmvn_mxn_16_kernelILj40ELj10ELj4EfEEvi20rocsparse_direction_NS_24const_host_device_scalarIT2_EEPKiS6_PKS3_iiS8_S4_PS3_21rocsparse_index_base_b.uses_flat_scratch, 0
	.set _ZN9rocsparseL22gebsrmvn_mxn_16_kernelILj40ELj10ELj4EfEEvi20rocsparse_direction_NS_24const_host_device_scalarIT2_EEPKiS6_PKS3_iiS8_S4_PS3_21rocsparse_index_base_b.has_dyn_sized_stack, 0
	.set _ZN9rocsparseL22gebsrmvn_mxn_16_kernelILj40ELj10ELj4EfEEvi20rocsparse_direction_NS_24const_host_device_scalarIT2_EEPKiS6_PKS3_iiS8_S4_PS3_21rocsparse_index_base_b.has_recursion, 0
	.set _ZN9rocsparseL22gebsrmvn_mxn_16_kernelILj40ELj10ELj4EfEEvi20rocsparse_direction_NS_24const_host_device_scalarIT2_EEPKiS6_PKS3_iiS8_S4_PS3_21rocsparse_index_base_b.has_indirect_call, 0
	.section	.AMDGPU.csdata,"",@progbits
; Kernel info:
; codeLenInByte = 848
; TotalNumSgprs: 26
; NumVgprs: 12
; ScratchSize: 0
; MemoryBound: 0
; FloatMode: 240
; IeeeMode: 1
; LDSByteSize: 160 bytes/workgroup (compile time only)
; SGPRBlocks: 3
; VGPRBlocks: 2
; NumSGPRsForWavesPerEU: 26
; NumVGPRsForWavesPerEU: 12
; Occupancy: 10
; WaveLimiterHint : 1
; COMPUTE_PGM_RSRC2:SCRATCH_EN: 0
; COMPUTE_PGM_RSRC2:USER_SGPR: 6
; COMPUTE_PGM_RSRC2:TRAP_HANDLER: 0
; COMPUTE_PGM_RSRC2:TGID_X_EN: 1
; COMPUTE_PGM_RSRC2:TGID_Y_EN: 0
; COMPUTE_PGM_RSRC2:TGID_Z_EN: 0
; COMPUTE_PGM_RSRC2:TIDIG_COMP_CNT: 0
	.section	.text._ZN9rocsparseL22gebsrmvn_mxn_16_kernelILj50ELj10ELj5EfEEvi20rocsparse_direction_NS_24const_host_device_scalarIT2_EEPKiS6_PKS3_iiS8_S4_PS3_21rocsparse_index_base_b,"axG",@progbits,_ZN9rocsparseL22gebsrmvn_mxn_16_kernelILj50ELj10ELj5EfEEvi20rocsparse_direction_NS_24const_host_device_scalarIT2_EEPKiS6_PKS3_iiS8_S4_PS3_21rocsparse_index_base_b,comdat
	.globl	_ZN9rocsparseL22gebsrmvn_mxn_16_kernelILj50ELj10ELj5EfEEvi20rocsparse_direction_NS_24const_host_device_scalarIT2_EEPKiS6_PKS3_iiS8_S4_PS3_21rocsparse_index_base_b ; -- Begin function _ZN9rocsparseL22gebsrmvn_mxn_16_kernelILj50ELj10ELj5EfEEvi20rocsparse_direction_NS_24const_host_device_scalarIT2_EEPKiS6_PKS3_iiS8_S4_PS3_21rocsparse_index_base_b
	.p2align	8
	.type	_ZN9rocsparseL22gebsrmvn_mxn_16_kernelILj50ELj10ELj5EfEEvi20rocsparse_direction_NS_24const_host_device_scalarIT2_EEPKiS6_PKS3_iiS8_S4_PS3_21rocsparse_index_base_b,@function
_ZN9rocsparseL22gebsrmvn_mxn_16_kernelILj50ELj10ELj5EfEEvi20rocsparse_direction_NS_24const_host_device_scalarIT2_EEPKiS6_PKS3_iiS8_S4_PS3_21rocsparse_index_base_b: ; @_ZN9rocsparseL22gebsrmvn_mxn_16_kernelILj50ELj10ELj5EfEEvi20rocsparse_direction_NS_24const_host_device_scalarIT2_EEPKiS6_PKS3_iiS8_S4_PS3_21rocsparse_index_base_b
; %bb.0:
	s_load_dwordx2 s[14:15], s[4:5], 0x48
	s_load_dwordx2 s[10:11], s[4:5], 0x8
	;; [unrolled: 1-line block ×3, first 2 shown]
	s_waitcnt lgkmcnt(0)
	s_bitcmp1_b32 s15, 0
	s_cselect_b64 s[2:3], -1, 0
	s_xor_b64 s[0:1], s[2:3], -1
	s_and_b64 vcc, exec, s[2:3]
	s_cbranch_vccnz .LBB14_2
; %bb.1:
	s_load_dword s10, s[10:11], 0x0
.LBB14_2:
	s_andn2_b64 vcc, exec, s[0:1]
	s_cbranch_vccnz .LBB14_4
; %bb.3:
	s_load_dword s8, s[8:9], 0x0
.LBB14_4:
	s_waitcnt lgkmcnt(0)
	v_cmp_eq_f32_e64 s[0:1], s10, 0
	v_cmp_eq_f32_e64 s[2:3], s8, 1.0
	s_and_b64 s[0:1], s[0:1], s[2:3]
	s_and_b64 vcc, exec, s[0:1]
	s_cbranch_vccnz .LBB14_36
; %bb.5:
	s_load_dwordx2 s[0:1], s[4:5], 0x10
	s_load_dword s2, s[4:5], 0x4
	v_mul_u32_u24_e32 v1, 0x3334, v0
	v_mov_b32_e32 v2, 5
	v_mul_lo_u16_sdwa v1, v1, v2 dst_sel:DWORD dst_unused:UNUSED_PAD src0_sel:WORD_1 src1_sel:DWORD
	v_sub_u16_e32 v7, v0, v1
	s_waitcnt lgkmcnt(0)
	s_cmp_lg_u32 s2, 1
	s_cselect_b64 s[16:17], -1, 0
	s_and_b64 vcc, exec, s[16:17]
	v_mov_b32_e32 v1, v7
	s_cbranch_vccnz .LBB14_7
; %bb.6:
	s_movk_i32 s2, 0x199a
	v_mul_u32_u24_sdwa v1, v0, s2 dst_sel:DWORD dst_unused:UNUSED_PAD src0_sel:WORD_0 src1_sel:DWORD
	v_mov_b32_e32 v3, 52
	v_mul_lo_u16_sdwa v3, v1, v3 dst_sel:DWORD dst_unused:UNUSED_PAD src0_sel:WORD_1 src1_sel:DWORD
	v_mul_lo_u16_sdwa v2, v3, v2 dst_sel:DWORD dst_unused:UNUSED_PAD src0_sel:BYTE_1 src1_sel:DWORD
	v_sub_u16_sdwa v1, v1, v2 dst_sel:DWORD dst_unused:UNUSED_PAD src0_sel:WORD_1 src1_sel:DWORD
	v_and_b32_e32 v1, 0xff, v1
.LBB14_7:
	s_ashr_i32 s7, s6, 31
	s_lshl_b64 s[2:3], s[6:7], 2
	s_add_u32 s0, s0, s2
	s_addc_u32 s1, s1, s3
	s_load_dwordx2 s[20:21], s[0:1], 0x0
	s_load_dwordx2 s[12:13], s[4:5], 0x40
	v_mov_b32_e32 v6, 0
	s_waitcnt lgkmcnt(0)
	s_cmp_ge_i32 s20, s21
	s_cbranch_scc1 .LBB14_12
; %bb.8:
	s_load_dwordx4 s[0:3], s[4:5], 0x18
	s_load_dwordx2 s[18:19], s[4:5], 0x30
	v_mad_u64_u32 v[2:3], s[4:5], s20, 50, v[0:1]
	s_movk_i32 s4, 0x51f
	v_mul_u32_u24_sdwa v8, v0, s4 dst_sel:DWORD dst_unused:UNUSED_PAD src0_sel:WORD_0 src1_sel:DWORD
	s_mul_i32 s4, s14, 50
	v_mov_b32_e32 v3, 0
	s_sub_i32 s7, s21, s14
	s_sub_i32 s9, s20, s14
	v_subrev_u32_e32 v2, s4, v2
	v_mov_b32_e32 v6, v3
	s_branch .LBB14_10
.LBB14_9:                               ;   in Loop: Header=BB14_10 Depth=1
	s_or_b64 exec, exec, s[4:5]
	s_add_i32 s9, s9, 1
	s_cmp_ge_i32 s9, s7
	v_add_u32_e32 v2, 50, v2
	s_cbranch_scc1 .LBB14_12
.LBB14_10:                              ; =>This Inner Loop Header: Depth=1
	v_add_u32_sdwa v4, v8, s9 dst_sel:DWORD dst_unused:UNUSED_PAD src0_sel:WORD_1 src1_sel:DWORD
	v_cmp_gt_i32_e32 vcc, s7, v4
	s_and_saveexec_b64 s[4:5], vcc
	s_cbranch_execz .LBB14_9
; %bb.11:                               ;   in Loop: Header=BB14_10 Depth=1
	v_ashrrev_i32_e32 v5, 31, v4
	v_lshlrev_b64 v[4:5], 2, v[4:5]
	s_waitcnt lgkmcnt(0)
	v_mov_b32_e32 v9, s1
	v_add_co_u32_e32 v4, vcc, s0, v4
	v_addc_co_u32_e32 v5, vcc, v9, v5, vcc
	global_load_dword v9, v[4:5], off
	v_lshlrev_b64 v[4:5], 2, v[2:3]
	v_mov_b32_e32 v11, s3
	v_add_co_u32_e32 v4, vcc, s2, v4
	v_addc_co_u32_e32 v5, vcc, v11, v5, vcc
	global_load_dword v11, v[4:5], off
	v_mov_b32_e32 v12, s19
	s_waitcnt vmcnt(1)
	v_subrev_u32_e32 v9, s14, v9
	v_mad_u64_u32 v[9:10], s[20:21], v9, 5, v[1:2]
	v_ashrrev_i32_e32 v10, 31, v9
	v_lshlrev_b64 v[4:5], 2, v[9:10]
	v_add_co_u32_e32 v4, vcc, s18, v4
	v_addc_co_u32_e32 v5, vcc, v12, v5, vcc
	global_load_dword v4, v[4:5], off
	s_waitcnt vmcnt(0)
	v_fmac_f32_e32 v6, v11, v4
	s_branch .LBB14_9
.LBB14_12:
	v_lshlrev_b32_e32 v1, 2, v0
	s_and_b64 vcc, exec, s[16:17]
	ds_write_b32 v1, v6
	s_waitcnt lgkmcnt(0)
	; wave barrier
	s_cbranch_vccz .LBB14_22
; %bb.13:
	v_cmp_eq_u16_e32 vcc, 0, v7
	s_and_saveexec_b64 s[0:1], vcc
	s_cbranch_execz .LBB14_15
; %bb.14:
	ds_read2_b32 v[2:3], v1 offset1:4
	s_waitcnt lgkmcnt(0)
	v_add_f32_e32 v2, v3, v2
	ds_write_b32 v1, v2
.LBB14_15:
	s_or_b64 exec, exec, s[0:1]
	v_cmp_gt_u16_e64 s[0:1], 2, v7
	s_waitcnt lgkmcnt(0)
	; wave barrier
	s_and_saveexec_b64 s[2:3], s[0:1]
	s_cbranch_execz .LBB14_17
; %bb.16:
	ds_read2_b32 v[2:3], v1 offset1:2
	s_waitcnt lgkmcnt(0)
	v_add_f32_e32 v2, v3, v2
	ds_write_b32 v1, v2
.LBB14_17:
	s_or_b64 exec, exec, s[2:3]
	s_waitcnt lgkmcnt(0)
	; wave barrier
	s_and_saveexec_b64 s[0:1], vcc
	s_cbranch_execz .LBB14_19
; %bb.18:
	ds_read2_b32 v[2:3], v1 offset1:1
	s_waitcnt lgkmcnt(0)
	v_add_f32_e32 v2, v3, v2
	ds_write_b32 v1, v2
.LBB14_19:
	s_or_b64 exec, exec, s[0:1]
	v_cmp_gt_u32_e32 vcc, 10, v0
	v_mov_b32_e32 v2, v6
	s_waitcnt lgkmcnt(0)
	; wave barrier
	s_and_saveexec_b64 s[0:1], vcc
; %bb.20:
	v_lshl_add_u32 v2, v0, 4, v1
	ds_read_b32 v2, v2
; %bb.21:
	s_or_b64 exec, exec, s[0:1]
	v_cmp_gt_u32_e64 s[0:1], 10, v0
	s_branch .LBB14_32
.LBB14_22:
                                        ; implicit-def: $vgpr2
	v_cmp_gt_u32_e64 s[0:1], 10, v0
	s_cbranch_execz .LBB14_32
; %bb.23:
	v_cmp_lt_u32_e32 vcc, 9, v0
	s_and_saveexec_b64 s[2:3], s[0:1]
	s_cbranch_execz .LBB14_25
; %bb.24:
	s_waitcnt lgkmcnt(0)
	ds_read2_b32 v[2:3], v1 offset1:40
	s_waitcnt lgkmcnt(0)
	v_add_f32_e32 v2, v3, v2
	ds_write_b32 v1, v2
.LBB14_25:
	s_or_b64 exec, exec, s[2:3]
	v_cmp_gt_u32_e64 s[0:1], 20, v0
	s_waitcnt lgkmcnt(0)
	; wave barrier
	s_and_saveexec_b64 s[2:3], s[0:1]
	s_cbranch_execz .LBB14_27
; %bb.26:
	ds_read2_b32 v[2:3], v1 offset1:20
	s_waitcnt lgkmcnt(0)
	v_add_f32_e32 v2, v3, v2
	ds_write_b32 v1, v2
.LBB14_27:
	s_or_b64 exec, exec, s[2:3]
	s_waitcnt lgkmcnt(0)
	s_and_saveexec_b64 s[0:1], vcc
	s_xor_b64 s[0:1], exec, s[0:1]
; %bb.28:
                                        ; implicit-def: $vgpr1
; %bb.29:
	s_andn2_saveexec_b64 s[0:1], s[0:1]
	s_cbranch_execz .LBB14_31
; %bb.30:
	ds_read2_b32 v[2:3], v1 offset1:10
	s_waitcnt lgkmcnt(0)
	v_add_f32_e32 v2, v3, v2
	ds_write_b32 v1, v2
	s_waitcnt lgkmcnt(0)
	ds_read_b32 v6, v1
.LBB14_31:
	s_or_b64 exec, exec, s[0:1]
	s_waitcnt lgkmcnt(0)
	v_mov_b32_e32 v2, v6
.LBB14_32:
	v_cmp_gt_u32_e32 vcc, 10, v0
	s_and_saveexec_b64 s[0:1], vcc
	s_cbranch_execz .LBB14_36
; %bb.33:
	v_cmp_eq_f32_e64 s[0:1], s8, 0
	s_and_b64 vcc, exec, s[0:1]
	s_waitcnt lgkmcnt(0)
	v_mul_f32_e32 v1, s10, v2
	s_cbranch_vccz .LBB14_37
; %bb.34:
	v_mad_u64_u32 v[2:3], s[0:1], s6, 10, v[0:1]
	v_mov_b32_e32 v3, 0
	v_mov_b32_e32 v4, s13
	v_lshlrev_b64 v[2:3], 2, v[2:3]
	v_add_co_u32_e32 v2, vcc, s12, v2
	v_addc_co_u32_e32 v3, vcc, v4, v3, vcc
	global_store_dword v[2:3], v1, off
	s_cbranch_execnz .LBB14_36
.LBB14_35:
	v_mad_u64_u32 v[2:3], s[0:1], s6, 10, v[0:1]
	v_mov_b32_e32 v3, 0
	v_mov_b32_e32 v0, s13
	v_lshlrev_b64 v[2:3], 2, v[2:3]
	v_add_co_u32_e32 v2, vcc, s12, v2
	v_addc_co_u32_e32 v3, vcc, v0, v3, vcc
	global_load_dword v0, v[2:3], off
	s_waitcnt vmcnt(0)
	v_fmac_f32_e32 v1, s8, v0
	global_store_dword v[2:3], v1, off
.LBB14_36:
	s_endpgm
.LBB14_37:
	s_branch .LBB14_35
	.section	.rodata,"a",@progbits
	.p2align	6, 0x0
	.amdhsa_kernel _ZN9rocsparseL22gebsrmvn_mxn_16_kernelILj50ELj10ELj5EfEEvi20rocsparse_direction_NS_24const_host_device_scalarIT2_EEPKiS6_PKS3_iiS8_S4_PS3_21rocsparse_index_base_b
		.amdhsa_group_segment_fixed_size 200
		.amdhsa_private_segment_fixed_size 0
		.amdhsa_kernarg_size 80
		.amdhsa_user_sgpr_count 6
		.amdhsa_user_sgpr_private_segment_buffer 1
		.amdhsa_user_sgpr_dispatch_ptr 0
		.amdhsa_user_sgpr_queue_ptr 0
		.amdhsa_user_sgpr_kernarg_segment_ptr 1
		.amdhsa_user_sgpr_dispatch_id 0
		.amdhsa_user_sgpr_flat_scratch_init 0
		.amdhsa_user_sgpr_private_segment_size 0
		.amdhsa_uses_dynamic_stack 0
		.amdhsa_system_sgpr_private_segment_wavefront_offset 0
		.amdhsa_system_sgpr_workgroup_id_x 1
		.amdhsa_system_sgpr_workgroup_id_y 0
		.amdhsa_system_sgpr_workgroup_id_z 0
		.amdhsa_system_sgpr_workgroup_info 0
		.amdhsa_system_vgpr_workitem_id 0
		.amdhsa_next_free_vgpr 13
		.amdhsa_next_free_sgpr 22
		.amdhsa_reserve_vcc 1
		.amdhsa_reserve_flat_scratch 0
		.amdhsa_float_round_mode_32 0
		.amdhsa_float_round_mode_16_64 0
		.amdhsa_float_denorm_mode_32 3
		.amdhsa_float_denorm_mode_16_64 3
		.amdhsa_dx10_clamp 1
		.amdhsa_ieee_mode 1
		.amdhsa_fp16_overflow 0
		.amdhsa_exception_fp_ieee_invalid_op 0
		.amdhsa_exception_fp_denorm_src 0
		.amdhsa_exception_fp_ieee_div_zero 0
		.amdhsa_exception_fp_ieee_overflow 0
		.amdhsa_exception_fp_ieee_underflow 0
		.amdhsa_exception_fp_ieee_inexact 0
		.amdhsa_exception_int_div_zero 0
	.end_amdhsa_kernel
	.section	.text._ZN9rocsparseL22gebsrmvn_mxn_16_kernelILj50ELj10ELj5EfEEvi20rocsparse_direction_NS_24const_host_device_scalarIT2_EEPKiS6_PKS3_iiS8_S4_PS3_21rocsparse_index_base_b,"axG",@progbits,_ZN9rocsparseL22gebsrmvn_mxn_16_kernelILj50ELj10ELj5EfEEvi20rocsparse_direction_NS_24const_host_device_scalarIT2_EEPKiS6_PKS3_iiS8_S4_PS3_21rocsparse_index_base_b,comdat
.Lfunc_end14:
	.size	_ZN9rocsparseL22gebsrmvn_mxn_16_kernelILj50ELj10ELj5EfEEvi20rocsparse_direction_NS_24const_host_device_scalarIT2_EEPKiS6_PKS3_iiS8_S4_PS3_21rocsparse_index_base_b, .Lfunc_end14-_ZN9rocsparseL22gebsrmvn_mxn_16_kernelILj50ELj10ELj5EfEEvi20rocsparse_direction_NS_24const_host_device_scalarIT2_EEPKiS6_PKS3_iiS8_S4_PS3_21rocsparse_index_base_b
                                        ; -- End function
	.set _ZN9rocsparseL22gebsrmvn_mxn_16_kernelILj50ELj10ELj5EfEEvi20rocsparse_direction_NS_24const_host_device_scalarIT2_EEPKiS6_PKS3_iiS8_S4_PS3_21rocsparse_index_base_b.num_vgpr, 13
	.set _ZN9rocsparseL22gebsrmvn_mxn_16_kernelILj50ELj10ELj5EfEEvi20rocsparse_direction_NS_24const_host_device_scalarIT2_EEPKiS6_PKS3_iiS8_S4_PS3_21rocsparse_index_base_b.num_agpr, 0
	.set _ZN9rocsparseL22gebsrmvn_mxn_16_kernelILj50ELj10ELj5EfEEvi20rocsparse_direction_NS_24const_host_device_scalarIT2_EEPKiS6_PKS3_iiS8_S4_PS3_21rocsparse_index_base_b.numbered_sgpr, 22
	.set _ZN9rocsparseL22gebsrmvn_mxn_16_kernelILj50ELj10ELj5EfEEvi20rocsparse_direction_NS_24const_host_device_scalarIT2_EEPKiS6_PKS3_iiS8_S4_PS3_21rocsparse_index_base_b.num_named_barrier, 0
	.set _ZN9rocsparseL22gebsrmvn_mxn_16_kernelILj50ELj10ELj5EfEEvi20rocsparse_direction_NS_24const_host_device_scalarIT2_EEPKiS6_PKS3_iiS8_S4_PS3_21rocsparse_index_base_b.private_seg_size, 0
	.set _ZN9rocsparseL22gebsrmvn_mxn_16_kernelILj50ELj10ELj5EfEEvi20rocsparse_direction_NS_24const_host_device_scalarIT2_EEPKiS6_PKS3_iiS8_S4_PS3_21rocsparse_index_base_b.uses_vcc, 1
	.set _ZN9rocsparseL22gebsrmvn_mxn_16_kernelILj50ELj10ELj5EfEEvi20rocsparse_direction_NS_24const_host_device_scalarIT2_EEPKiS6_PKS3_iiS8_S4_PS3_21rocsparse_index_base_b.uses_flat_scratch, 0
	.set _ZN9rocsparseL22gebsrmvn_mxn_16_kernelILj50ELj10ELj5EfEEvi20rocsparse_direction_NS_24const_host_device_scalarIT2_EEPKiS6_PKS3_iiS8_S4_PS3_21rocsparse_index_base_b.has_dyn_sized_stack, 0
	.set _ZN9rocsparseL22gebsrmvn_mxn_16_kernelILj50ELj10ELj5EfEEvi20rocsparse_direction_NS_24const_host_device_scalarIT2_EEPKiS6_PKS3_iiS8_S4_PS3_21rocsparse_index_base_b.has_recursion, 0
	.set _ZN9rocsparseL22gebsrmvn_mxn_16_kernelILj50ELj10ELj5EfEEvi20rocsparse_direction_NS_24const_host_device_scalarIT2_EEPKiS6_PKS3_iiS8_S4_PS3_21rocsparse_index_base_b.has_indirect_call, 0
	.section	.AMDGPU.csdata,"",@progbits
; Kernel info:
; codeLenInByte = 1008
; TotalNumSgprs: 26
; NumVgprs: 13
; ScratchSize: 0
; MemoryBound: 0
; FloatMode: 240
; IeeeMode: 1
; LDSByteSize: 200 bytes/workgroup (compile time only)
; SGPRBlocks: 3
; VGPRBlocks: 3
; NumSGPRsForWavesPerEU: 26
; NumVGPRsForWavesPerEU: 13
; Occupancy: 10
; WaveLimiterHint : 1
; COMPUTE_PGM_RSRC2:SCRATCH_EN: 0
; COMPUTE_PGM_RSRC2:USER_SGPR: 6
; COMPUTE_PGM_RSRC2:TRAP_HANDLER: 0
; COMPUTE_PGM_RSRC2:TGID_X_EN: 1
; COMPUTE_PGM_RSRC2:TGID_Y_EN: 0
; COMPUTE_PGM_RSRC2:TGID_Z_EN: 0
; COMPUTE_PGM_RSRC2:TIDIG_COMP_CNT: 0
	.section	.text._ZN9rocsparseL22gebsrmvn_mxn_16_kernelILj60ELj10ELj6EfEEvi20rocsparse_direction_NS_24const_host_device_scalarIT2_EEPKiS6_PKS3_iiS8_S4_PS3_21rocsparse_index_base_b,"axG",@progbits,_ZN9rocsparseL22gebsrmvn_mxn_16_kernelILj60ELj10ELj6EfEEvi20rocsparse_direction_NS_24const_host_device_scalarIT2_EEPKiS6_PKS3_iiS8_S4_PS3_21rocsparse_index_base_b,comdat
	.globl	_ZN9rocsparseL22gebsrmvn_mxn_16_kernelILj60ELj10ELj6EfEEvi20rocsparse_direction_NS_24const_host_device_scalarIT2_EEPKiS6_PKS3_iiS8_S4_PS3_21rocsparse_index_base_b ; -- Begin function _ZN9rocsparseL22gebsrmvn_mxn_16_kernelILj60ELj10ELj6EfEEvi20rocsparse_direction_NS_24const_host_device_scalarIT2_EEPKiS6_PKS3_iiS8_S4_PS3_21rocsparse_index_base_b
	.p2align	8
	.type	_ZN9rocsparseL22gebsrmvn_mxn_16_kernelILj60ELj10ELj6EfEEvi20rocsparse_direction_NS_24const_host_device_scalarIT2_EEPKiS6_PKS3_iiS8_S4_PS3_21rocsparse_index_base_b,@function
_ZN9rocsparseL22gebsrmvn_mxn_16_kernelILj60ELj10ELj6EfEEvi20rocsparse_direction_NS_24const_host_device_scalarIT2_EEPKiS6_PKS3_iiS8_S4_PS3_21rocsparse_index_base_b: ; @_ZN9rocsparseL22gebsrmvn_mxn_16_kernelILj60ELj10ELj6EfEEvi20rocsparse_direction_NS_24const_host_device_scalarIT2_EEPKiS6_PKS3_iiS8_S4_PS3_21rocsparse_index_base_b
; %bb.0:
	s_load_dwordx2 s[14:15], s[4:5], 0x48
	s_load_dwordx2 s[10:11], s[4:5], 0x8
	;; [unrolled: 1-line block ×3, first 2 shown]
	s_waitcnt lgkmcnt(0)
	s_bitcmp1_b32 s15, 0
	s_cselect_b64 s[2:3], -1, 0
	s_xor_b64 s[0:1], s[2:3], -1
	s_and_b64 vcc, exec, s[2:3]
	s_cbranch_vccnz .LBB15_2
; %bb.1:
	s_load_dword s10, s[10:11], 0x0
.LBB15_2:
	s_andn2_b64 vcc, exec, s[0:1]
	s_cbranch_vccnz .LBB15_4
; %bb.3:
	s_load_dword s8, s[8:9], 0x0
.LBB15_4:
	s_waitcnt lgkmcnt(0)
	v_cmp_eq_f32_e64 s[0:1], s10, 0
	v_cmp_eq_f32_e64 s[2:3], s8, 1.0
	s_and_b64 s[0:1], s[0:1], s[2:3]
	s_and_b64 vcc, exec, s[0:1]
	s_cbranch_vccnz .LBB15_36
; %bb.5:
	s_load_dwordx2 s[0:1], s[4:5], 0x10
	s_load_dword s2, s[4:5], 0x4
	v_mul_u32_u24_e32 v1, 0x2aab, v0
	v_mov_b32_e32 v2, 6
	v_mul_lo_u16_sdwa v1, v1, v2 dst_sel:DWORD dst_unused:UNUSED_PAD src0_sel:WORD_1 src1_sel:DWORD
	v_sub_u16_e32 v7, v0, v1
	s_waitcnt lgkmcnt(0)
	s_cmp_lg_u32 s2, 1
	s_cselect_b64 s[16:17], -1, 0
	s_and_b64 vcc, exec, s[16:17]
	v_mov_b32_e32 v1, v7
	s_cbranch_vccnz .LBB15_7
; %bb.6:
	s_movk_i32 s2, 0x199a
	v_mul_u32_u24_sdwa v1, v0, s2 dst_sel:DWORD dst_unused:UNUSED_PAD src0_sel:WORD_0 src1_sel:DWORD
	v_mov_b32_e32 v3, 43
	v_mul_lo_u16_sdwa v3, v1, v3 dst_sel:DWORD dst_unused:UNUSED_PAD src0_sel:WORD_1 src1_sel:DWORD
	v_mul_lo_u16_sdwa v2, v3, v2 dst_sel:DWORD dst_unused:UNUSED_PAD src0_sel:BYTE_1 src1_sel:DWORD
	v_sub_u16_sdwa v1, v1, v2 dst_sel:DWORD dst_unused:UNUSED_PAD src0_sel:WORD_1 src1_sel:DWORD
	v_and_b32_e32 v1, 0xff, v1
.LBB15_7:
	s_ashr_i32 s7, s6, 31
	s_lshl_b64 s[2:3], s[6:7], 2
	s_add_u32 s0, s0, s2
	s_addc_u32 s1, s1, s3
	s_load_dwordx2 s[20:21], s[0:1], 0x0
	s_load_dwordx2 s[12:13], s[4:5], 0x40
	v_mov_b32_e32 v6, 0
	s_waitcnt lgkmcnt(0)
	s_cmp_ge_i32 s20, s21
	s_cbranch_scc1 .LBB15_12
; %bb.8:
	s_load_dwordx4 s[0:3], s[4:5], 0x18
	s_load_dwordx2 s[18:19], s[4:5], 0x30
	v_mad_u64_u32 v[2:3], s[4:5], s20, 60, v[0:1]
	s_movk_i32 s4, 0x445
	v_mul_u32_u24_sdwa v8, v0, s4 dst_sel:DWORD dst_unused:UNUSED_PAD src0_sel:WORD_0 src1_sel:DWORD
	s_mul_i32 s4, s14, 60
	v_mov_b32_e32 v3, 0
	s_sub_i32 s7, s21, s14
	s_sub_i32 s9, s20, s14
	v_subrev_u32_e32 v2, s4, v2
	v_mov_b32_e32 v6, v3
	s_branch .LBB15_10
.LBB15_9:                               ;   in Loop: Header=BB15_10 Depth=1
	s_or_b64 exec, exec, s[4:5]
	s_add_i32 s9, s9, 1
	s_cmp_ge_i32 s9, s7
	v_add_u32_e32 v2, 60, v2
	s_cbranch_scc1 .LBB15_12
.LBB15_10:                              ; =>This Inner Loop Header: Depth=1
	v_add_u32_sdwa v4, v8, s9 dst_sel:DWORD dst_unused:UNUSED_PAD src0_sel:WORD_1 src1_sel:DWORD
	v_cmp_gt_i32_e32 vcc, s7, v4
	s_and_saveexec_b64 s[4:5], vcc
	s_cbranch_execz .LBB15_9
; %bb.11:                               ;   in Loop: Header=BB15_10 Depth=1
	v_ashrrev_i32_e32 v5, 31, v4
	v_lshlrev_b64 v[4:5], 2, v[4:5]
	s_waitcnt lgkmcnt(0)
	v_mov_b32_e32 v9, s1
	v_add_co_u32_e32 v4, vcc, s0, v4
	v_addc_co_u32_e32 v5, vcc, v9, v5, vcc
	global_load_dword v9, v[4:5], off
	v_lshlrev_b64 v[4:5], 2, v[2:3]
	v_mov_b32_e32 v11, s3
	v_add_co_u32_e32 v4, vcc, s2, v4
	v_addc_co_u32_e32 v5, vcc, v11, v5, vcc
	global_load_dword v11, v[4:5], off
	v_mov_b32_e32 v12, s19
	s_waitcnt vmcnt(1)
	v_subrev_u32_e32 v9, s14, v9
	v_mad_u64_u32 v[9:10], s[20:21], v9, 6, v[1:2]
	v_ashrrev_i32_e32 v10, 31, v9
	v_lshlrev_b64 v[4:5], 2, v[9:10]
	v_add_co_u32_e32 v4, vcc, s18, v4
	v_addc_co_u32_e32 v5, vcc, v12, v5, vcc
	global_load_dword v4, v[4:5], off
	s_waitcnt vmcnt(0)
	v_fmac_f32_e32 v6, v11, v4
	s_branch .LBB15_9
.LBB15_12:
	v_lshlrev_b32_e32 v1, 2, v0
	s_and_b64 vcc, exec, s[16:17]
	ds_write_b32 v1, v6
	s_waitcnt lgkmcnt(0)
	; wave barrier
	s_cbranch_vccz .LBB15_22
; %bb.13:
	v_cmp_gt_u16_e32 vcc, 2, v7
	s_and_saveexec_b64 s[0:1], vcc
	s_cbranch_execz .LBB15_15
; %bb.14:
	ds_read2_b32 v[2:3], v1 offset1:4
	s_waitcnt lgkmcnt(0)
	v_add_f32_e32 v2, v3, v2
	ds_write_b32 v1, v2
.LBB15_15:
	s_or_b64 exec, exec, s[0:1]
	s_waitcnt lgkmcnt(0)
	; wave barrier
	s_and_saveexec_b64 s[0:1], vcc
	s_cbranch_execz .LBB15_17
; %bb.16:
	ds_read2_b32 v[2:3], v1 offset1:2
	s_waitcnt lgkmcnt(0)
	v_add_f32_e32 v2, v3, v2
	ds_write_b32 v1, v2
.LBB15_17:
	s_or_b64 exec, exec, s[0:1]
	v_cmp_eq_u16_e32 vcc, 0, v7
	s_waitcnt lgkmcnt(0)
	; wave barrier
	s_and_saveexec_b64 s[0:1], vcc
	s_cbranch_execz .LBB15_19
; %bb.18:
	ds_read2_b32 v[2:3], v1 offset1:1
	s_waitcnt lgkmcnt(0)
	v_add_f32_e32 v2, v3, v2
	ds_write_b32 v1, v2
.LBB15_19:
	s_or_b64 exec, exec, s[0:1]
	v_cmp_gt_u32_e32 vcc, 10, v0
	v_mov_b32_e32 v2, v6
	s_waitcnt lgkmcnt(0)
	; wave barrier
	s_and_saveexec_b64 s[0:1], vcc
; %bb.20:
	v_mad_u32_u24 v2, v0, 20, v1
	ds_read_b32 v2, v2
; %bb.21:
	s_or_b64 exec, exec, s[0:1]
	s_branch .LBB15_32
.LBB15_22:
                                        ; implicit-def: $vgpr2
	s_cbranch_execz .LBB15_32
; %bb.23:
	v_cmp_gt_u32_e32 vcc, 20, v0
	s_and_saveexec_b64 s[0:1], vcc
	s_cbranch_execz .LBB15_25
; %bb.24:
	s_waitcnt lgkmcnt(0)
	ds_read2_b32 v[2:3], v1 offset1:40
	s_waitcnt lgkmcnt(0)
	v_add_f32_e32 v2, v3, v2
	ds_write_b32 v1, v2
.LBB15_25:
	s_or_b64 exec, exec, s[0:1]
	s_waitcnt lgkmcnt(0)
	; wave barrier
	s_and_saveexec_b64 s[0:1], vcc
	s_cbranch_execz .LBB15_27
; %bb.26:
	ds_read2_b32 v[2:3], v1 offset1:20
	s_waitcnt lgkmcnt(0)
	v_add_f32_e32 v2, v3, v2
	ds_write_b32 v1, v2
.LBB15_27:
	s_or_b64 exec, exec, s[0:1]
	v_cmp_lt_u32_e32 vcc, 9, v0
	s_waitcnt lgkmcnt(0)
	s_and_saveexec_b64 s[0:1], vcc
	s_xor_b64 s[0:1], exec, s[0:1]
; %bb.28:
                                        ; implicit-def: $vgpr1
; %bb.29:
	s_andn2_saveexec_b64 s[0:1], s[0:1]
	s_cbranch_execz .LBB15_31
; %bb.30:
	ds_read2_b32 v[2:3], v1 offset1:10
	s_waitcnt lgkmcnt(0)
	v_add_f32_e32 v2, v3, v2
	ds_write_b32 v1, v2
	s_waitcnt lgkmcnt(0)
	ds_read_b32 v6, v1
.LBB15_31:
	s_or_b64 exec, exec, s[0:1]
	s_waitcnt lgkmcnt(0)
	v_mov_b32_e32 v2, v6
.LBB15_32:
	v_cmp_gt_u32_e32 vcc, 10, v0
	s_and_saveexec_b64 s[0:1], vcc
	s_cbranch_execz .LBB15_36
; %bb.33:
	v_cmp_eq_f32_e64 s[0:1], s8, 0
	s_and_b64 vcc, exec, s[0:1]
	s_waitcnt lgkmcnt(0)
	v_mul_f32_e32 v1, s10, v2
	s_cbranch_vccz .LBB15_37
; %bb.34:
	v_mad_u64_u32 v[2:3], s[0:1], s6, 10, v[0:1]
	v_mov_b32_e32 v3, 0
	v_mov_b32_e32 v4, s13
	v_lshlrev_b64 v[2:3], 2, v[2:3]
	v_add_co_u32_e32 v2, vcc, s12, v2
	v_addc_co_u32_e32 v3, vcc, v4, v3, vcc
	global_store_dword v[2:3], v1, off
	s_cbranch_execnz .LBB15_36
.LBB15_35:
	v_mad_u64_u32 v[2:3], s[0:1], s6, 10, v[0:1]
	v_mov_b32_e32 v3, 0
	v_mov_b32_e32 v0, s13
	v_lshlrev_b64 v[2:3], 2, v[2:3]
	v_add_co_u32_e32 v2, vcc, s12, v2
	v_addc_co_u32_e32 v3, vcc, v0, v3, vcc
	global_load_dword v0, v[2:3], off
	s_waitcnt vmcnt(0)
	v_fmac_f32_e32 v1, s8, v0
	global_store_dword v[2:3], v1, off
.LBB15_36:
	s_endpgm
.LBB15_37:
	s_branch .LBB15_35
	.section	.rodata,"a",@progbits
	.p2align	6, 0x0
	.amdhsa_kernel _ZN9rocsparseL22gebsrmvn_mxn_16_kernelILj60ELj10ELj6EfEEvi20rocsparse_direction_NS_24const_host_device_scalarIT2_EEPKiS6_PKS3_iiS8_S4_PS3_21rocsparse_index_base_b
		.amdhsa_group_segment_fixed_size 240
		.amdhsa_private_segment_fixed_size 0
		.amdhsa_kernarg_size 80
		.amdhsa_user_sgpr_count 6
		.amdhsa_user_sgpr_private_segment_buffer 1
		.amdhsa_user_sgpr_dispatch_ptr 0
		.amdhsa_user_sgpr_queue_ptr 0
		.amdhsa_user_sgpr_kernarg_segment_ptr 1
		.amdhsa_user_sgpr_dispatch_id 0
		.amdhsa_user_sgpr_flat_scratch_init 0
		.amdhsa_user_sgpr_private_segment_size 0
		.amdhsa_uses_dynamic_stack 0
		.amdhsa_system_sgpr_private_segment_wavefront_offset 0
		.amdhsa_system_sgpr_workgroup_id_x 1
		.amdhsa_system_sgpr_workgroup_id_y 0
		.amdhsa_system_sgpr_workgroup_id_z 0
		.amdhsa_system_sgpr_workgroup_info 0
		.amdhsa_system_vgpr_workitem_id 0
		.amdhsa_next_free_vgpr 13
		.amdhsa_next_free_sgpr 22
		.amdhsa_reserve_vcc 1
		.amdhsa_reserve_flat_scratch 0
		.amdhsa_float_round_mode_32 0
		.amdhsa_float_round_mode_16_64 0
		.amdhsa_float_denorm_mode_32 3
		.amdhsa_float_denorm_mode_16_64 3
		.amdhsa_dx10_clamp 1
		.amdhsa_ieee_mode 1
		.amdhsa_fp16_overflow 0
		.amdhsa_exception_fp_ieee_invalid_op 0
		.amdhsa_exception_fp_denorm_src 0
		.amdhsa_exception_fp_ieee_div_zero 0
		.amdhsa_exception_fp_ieee_overflow 0
		.amdhsa_exception_fp_ieee_underflow 0
		.amdhsa_exception_fp_ieee_inexact 0
		.amdhsa_exception_int_div_zero 0
	.end_amdhsa_kernel
	.section	.text._ZN9rocsparseL22gebsrmvn_mxn_16_kernelILj60ELj10ELj6EfEEvi20rocsparse_direction_NS_24const_host_device_scalarIT2_EEPKiS6_PKS3_iiS8_S4_PS3_21rocsparse_index_base_b,"axG",@progbits,_ZN9rocsparseL22gebsrmvn_mxn_16_kernelILj60ELj10ELj6EfEEvi20rocsparse_direction_NS_24const_host_device_scalarIT2_EEPKiS6_PKS3_iiS8_S4_PS3_21rocsparse_index_base_b,comdat
.Lfunc_end15:
	.size	_ZN9rocsparseL22gebsrmvn_mxn_16_kernelILj60ELj10ELj6EfEEvi20rocsparse_direction_NS_24const_host_device_scalarIT2_EEPKiS6_PKS3_iiS8_S4_PS3_21rocsparse_index_base_b, .Lfunc_end15-_ZN9rocsparseL22gebsrmvn_mxn_16_kernelILj60ELj10ELj6EfEEvi20rocsparse_direction_NS_24const_host_device_scalarIT2_EEPKiS6_PKS3_iiS8_S4_PS3_21rocsparse_index_base_b
                                        ; -- End function
	.set _ZN9rocsparseL22gebsrmvn_mxn_16_kernelILj60ELj10ELj6EfEEvi20rocsparse_direction_NS_24const_host_device_scalarIT2_EEPKiS6_PKS3_iiS8_S4_PS3_21rocsparse_index_base_b.num_vgpr, 13
	.set _ZN9rocsparseL22gebsrmvn_mxn_16_kernelILj60ELj10ELj6EfEEvi20rocsparse_direction_NS_24const_host_device_scalarIT2_EEPKiS6_PKS3_iiS8_S4_PS3_21rocsparse_index_base_b.num_agpr, 0
	.set _ZN9rocsparseL22gebsrmvn_mxn_16_kernelILj60ELj10ELj6EfEEvi20rocsparse_direction_NS_24const_host_device_scalarIT2_EEPKiS6_PKS3_iiS8_S4_PS3_21rocsparse_index_base_b.numbered_sgpr, 22
	.set _ZN9rocsparseL22gebsrmvn_mxn_16_kernelILj60ELj10ELj6EfEEvi20rocsparse_direction_NS_24const_host_device_scalarIT2_EEPKiS6_PKS3_iiS8_S4_PS3_21rocsparse_index_base_b.num_named_barrier, 0
	.set _ZN9rocsparseL22gebsrmvn_mxn_16_kernelILj60ELj10ELj6EfEEvi20rocsparse_direction_NS_24const_host_device_scalarIT2_EEPKiS6_PKS3_iiS8_S4_PS3_21rocsparse_index_base_b.private_seg_size, 0
	.set _ZN9rocsparseL22gebsrmvn_mxn_16_kernelILj60ELj10ELj6EfEEvi20rocsparse_direction_NS_24const_host_device_scalarIT2_EEPKiS6_PKS3_iiS8_S4_PS3_21rocsparse_index_base_b.uses_vcc, 1
	.set _ZN9rocsparseL22gebsrmvn_mxn_16_kernelILj60ELj10ELj6EfEEvi20rocsparse_direction_NS_24const_host_device_scalarIT2_EEPKiS6_PKS3_iiS8_S4_PS3_21rocsparse_index_base_b.uses_flat_scratch, 0
	.set _ZN9rocsparseL22gebsrmvn_mxn_16_kernelILj60ELj10ELj6EfEEvi20rocsparse_direction_NS_24const_host_device_scalarIT2_EEPKiS6_PKS3_iiS8_S4_PS3_21rocsparse_index_base_b.has_dyn_sized_stack, 0
	.set _ZN9rocsparseL22gebsrmvn_mxn_16_kernelILj60ELj10ELj6EfEEvi20rocsparse_direction_NS_24const_host_device_scalarIT2_EEPKiS6_PKS3_iiS8_S4_PS3_21rocsparse_index_base_b.has_recursion, 0
	.set _ZN9rocsparseL22gebsrmvn_mxn_16_kernelILj60ELj10ELj6EfEEvi20rocsparse_direction_NS_24const_host_device_scalarIT2_EEPKiS6_PKS3_iiS8_S4_PS3_21rocsparse_index_base_b.has_indirect_call, 0
	.section	.AMDGPU.csdata,"",@progbits
; Kernel info:
; codeLenInByte = 984
; TotalNumSgprs: 26
; NumVgprs: 13
; ScratchSize: 0
; MemoryBound: 0
; FloatMode: 240
; IeeeMode: 1
; LDSByteSize: 240 bytes/workgroup (compile time only)
; SGPRBlocks: 3
; VGPRBlocks: 3
; NumSGPRsForWavesPerEU: 26
; NumVGPRsForWavesPerEU: 13
; Occupancy: 10
; WaveLimiterHint : 1
; COMPUTE_PGM_RSRC2:SCRATCH_EN: 0
; COMPUTE_PGM_RSRC2:USER_SGPR: 6
; COMPUTE_PGM_RSRC2:TRAP_HANDLER: 0
; COMPUTE_PGM_RSRC2:TGID_X_EN: 1
; COMPUTE_PGM_RSRC2:TGID_Y_EN: 0
; COMPUTE_PGM_RSRC2:TGID_Z_EN: 0
; COMPUTE_PGM_RSRC2:TIDIG_COMP_CNT: 0
	.section	.text._ZN9rocsparseL22gebsrmvn_mxn_16_kernelILj70ELj10ELj7EfEEvi20rocsparse_direction_NS_24const_host_device_scalarIT2_EEPKiS6_PKS3_iiS8_S4_PS3_21rocsparse_index_base_b,"axG",@progbits,_ZN9rocsparseL22gebsrmvn_mxn_16_kernelILj70ELj10ELj7EfEEvi20rocsparse_direction_NS_24const_host_device_scalarIT2_EEPKiS6_PKS3_iiS8_S4_PS3_21rocsparse_index_base_b,comdat
	.globl	_ZN9rocsparseL22gebsrmvn_mxn_16_kernelILj70ELj10ELj7EfEEvi20rocsparse_direction_NS_24const_host_device_scalarIT2_EEPKiS6_PKS3_iiS8_S4_PS3_21rocsparse_index_base_b ; -- Begin function _ZN9rocsparseL22gebsrmvn_mxn_16_kernelILj70ELj10ELj7EfEEvi20rocsparse_direction_NS_24const_host_device_scalarIT2_EEPKiS6_PKS3_iiS8_S4_PS3_21rocsparse_index_base_b
	.p2align	8
	.type	_ZN9rocsparseL22gebsrmvn_mxn_16_kernelILj70ELj10ELj7EfEEvi20rocsparse_direction_NS_24const_host_device_scalarIT2_EEPKiS6_PKS3_iiS8_S4_PS3_21rocsparse_index_base_b,@function
_ZN9rocsparseL22gebsrmvn_mxn_16_kernelILj70ELj10ELj7EfEEvi20rocsparse_direction_NS_24const_host_device_scalarIT2_EEPKiS6_PKS3_iiS8_S4_PS3_21rocsparse_index_base_b: ; @_ZN9rocsparseL22gebsrmvn_mxn_16_kernelILj70ELj10ELj7EfEEvi20rocsparse_direction_NS_24const_host_device_scalarIT2_EEPKiS6_PKS3_iiS8_S4_PS3_21rocsparse_index_base_b
; %bb.0:
	s_load_dwordx2 s[14:15], s[4:5], 0x48
	s_load_dwordx2 s[10:11], s[4:5], 0x8
	s_load_dwordx2 s[8:9], s[4:5], 0x38
	s_waitcnt lgkmcnt(0)
	s_bitcmp1_b32 s15, 0
	s_cselect_b64 s[2:3], -1, 0
	s_xor_b64 s[0:1], s[2:3], -1
	s_and_b64 vcc, exec, s[2:3]
	s_cbranch_vccnz .LBB16_2
; %bb.1:
	s_load_dword s10, s[10:11], 0x0
.LBB16_2:
	s_andn2_b64 vcc, exec, s[0:1]
	s_cbranch_vccnz .LBB16_4
; %bb.3:
	s_load_dword s8, s[8:9], 0x0
.LBB16_4:
	s_waitcnt lgkmcnt(0)
	v_cmp_eq_f32_e64 s[0:1], s10, 0
	v_cmp_eq_f32_e64 s[2:3], s8, 1.0
	s_and_b64 s[0:1], s[0:1], s[2:3]
	s_and_b64 vcc, exec, s[0:1]
	s_cbranch_vccnz .LBB16_36
; %bb.5:
	s_load_dwordx2 s[0:1], s[4:5], 0x10
	s_load_dword s2, s[4:5], 0x4
	v_mul_u32_u24_e32 v1, 0x2493, v0
	v_mov_b32_e32 v2, 7
	v_mul_lo_u16_sdwa v1, v1, v2 dst_sel:DWORD dst_unused:UNUSED_PAD src0_sel:WORD_1 src1_sel:DWORD
	v_sub_u16_e32 v7, v0, v1
	s_waitcnt lgkmcnt(0)
	s_cmp_lg_u32 s2, 1
	s_cselect_b64 s[16:17], -1, 0
	s_and_b64 vcc, exec, s[16:17]
	v_mov_b32_e32 v1, v7
	s_cbranch_vccnz .LBB16_7
; %bb.6:
	s_movk_i32 s2, 0x199a
	v_mul_u32_u24_sdwa v1, v0, s2 dst_sel:DWORD dst_unused:UNUSED_PAD src0_sel:WORD_0 src1_sel:DWORD
	v_mov_b32_e32 v3, 37
	v_mul_lo_u16_sdwa v3, v1, v3 dst_sel:DWORD dst_unused:UNUSED_PAD src0_sel:WORD_1 src1_sel:DWORD
	v_mul_lo_u16_sdwa v2, v3, v2 dst_sel:DWORD dst_unused:UNUSED_PAD src0_sel:BYTE_1 src1_sel:DWORD
	v_sub_u16_sdwa v1, v1, v2 dst_sel:DWORD dst_unused:UNUSED_PAD src0_sel:WORD_1 src1_sel:DWORD
	v_and_b32_e32 v1, 0xff, v1
.LBB16_7:
	s_ashr_i32 s7, s6, 31
	s_lshl_b64 s[2:3], s[6:7], 2
	s_add_u32 s0, s0, s2
	s_addc_u32 s1, s1, s3
	s_load_dwordx2 s[20:21], s[0:1], 0x0
	s_load_dwordx2 s[12:13], s[4:5], 0x40
	v_mov_b32_e32 v6, 0
	s_waitcnt lgkmcnt(0)
	s_cmp_ge_i32 s20, s21
	s_cbranch_scc1 .LBB16_12
; %bb.8:
	s_load_dwordx4 s[0:3], s[4:5], 0x18
	s_load_dwordx2 s[18:19], s[4:5], 0x30
	s_movk_i32 s4, 0x3a9
	v_mul_u32_u24_sdwa v8, v0, s4 dst_sel:DWORD dst_unused:UNUSED_PAD src0_sel:WORD_0 src1_sel:DWORD
	s_mul_i32 s4, s20, 0x46
	v_add_u32_e32 v2, s4, v0
	s_mul_i32 s4, s14, 0x46
	v_mov_b32_e32 v3, 0
	s_sub_i32 s7, s21, s14
	s_sub_i32 s9, s20, s14
	v_subrev_u32_e32 v2, s4, v2
	v_mov_b32_e32 v6, v3
	s_branch .LBB16_10
.LBB16_9:                               ;   in Loop: Header=BB16_10 Depth=1
	s_or_b64 exec, exec, s[4:5]
	s_add_i32 s9, s9, 1
	s_cmp_ge_i32 s9, s7
	v_add_u32_e32 v2, 0x46, v2
	s_cbranch_scc1 .LBB16_12
.LBB16_10:                              ; =>This Inner Loop Header: Depth=1
	v_add_u32_sdwa v4, v8, s9 dst_sel:DWORD dst_unused:UNUSED_PAD src0_sel:WORD_1 src1_sel:DWORD
	v_cmp_gt_i32_e32 vcc, s7, v4
	s_and_saveexec_b64 s[4:5], vcc
	s_cbranch_execz .LBB16_9
; %bb.11:                               ;   in Loop: Header=BB16_10 Depth=1
	v_ashrrev_i32_e32 v5, 31, v4
	v_lshlrev_b64 v[4:5], 2, v[4:5]
	s_waitcnt lgkmcnt(0)
	v_mov_b32_e32 v9, s1
	v_add_co_u32_e32 v4, vcc, s0, v4
	v_addc_co_u32_e32 v5, vcc, v9, v5, vcc
	global_load_dword v9, v[4:5], off
	v_lshlrev_b64 v[4:5], 2, v[2:3]
	v_mov_b32_e32 v11, s3
	v_add_co_u32_e32 v4, vcc, s2, v4
	v_addc_co_u32_e32 v5, vcc, v11, v5, vcc
	global_load_dword v11, v[4:5], off
	v_mov_b32_e32 v12, s19
	s_waitcnt vmcnt(1)
	v_subrev_u32_e32 v9, s14, v9
	v_mad_u64_u32 v[9:10], s[20:21], v9, 7, v[1:2]
	v_ashrrev_i32_e32 v10, 31, v9
	v_lshlrev_b64 v[4:5], 2, v[9:10]
	v_add_co_u32_e32 v4, vcc, s18, v4
	v_addc_co_u32_e32 v5, vcc, v12, v5, vcc
	global_load_dword v4, v[4:5], off
	s_waitcnt vmcnt(0)
	v_fmac_f32_e32 v6, v11, v4
	s_branch .LBB16_9
.LBB16_12:
	v_lshlrev_b32_e32 v1, 2, v0
	s_and_b64 vcc, exec, s[16:17]
	ds_write_b32 v1, v6
	s_waitcnt lgkmcnt(0)
	s_barrier
	s_cbranch_vccz .LBB16_22
; %bb.13:
	v_cmp_gt_u16_e32 vcc, 3, v7
	s_and_saveexec_b64 s[0:1], vcc
	s_cbranch_execz .LBB16_15
; %bb.14:
	ds_read2_b32 v[2:3], v1 offset1:4
	s_waitcnt lgkmcnt(0)
	v_add_f32_e32 v2, v3, v2
	ds_write_b32 v1, v2
.LBB16_15:
	s_or_b64 exec, exec, s[0:1]
	v_cmp_gt_u16_e32 vcc, 2, v7
	s_waitcnt lgkmcnt(0)
	s_barrier
	s_and_saveexec_b64 s[0:1], vcc
	s_cbranch_execz .LBB16_17
; %bb.16:
	ds_read2_b32 v[2:3], v1 offset1:2
	s_waitcnt lgkmcnt(0)
	v_add_f32_e32 v2, v3, v2
	ds_write_b32 v1, v2
.LBB16_17:
	s_or_b64 exec, exec, s[0:1]
	v_cmp_eq_u16_e32 vcc, 0, v7
	s_waitcnt lgkmcnt(0)
	s_barrier
	s_and_saveexec_b64 s[0:1], vcc
	s_cbranch_execz .LBB16_19
; %bb.18:
	ds_read2_b32 v[2:3], v1 offset1:1
	s_waitcnt lgkmcnt(0)
	v_add_f32_e32 v2, v3, v2
	ds_write_b32 v1, v2
.LBB16_19:
	s_or_b64 exec, exec, s[0:1]
	v_cmp_gt_u32_e32 vcc, 10, v0
	v_mov_b32_e32 v2, v6
	s_waitcnt lgkmcnt(0)
	s_barrier
	s_and_saveexec_b64 s[0:1], vcc
; %bb.20:
	v_mad_u32_u24 v2, v0, 24, v1
	ds_read_b32 v2, v2
; %bb.21:
	s_or_b64 exec, exec, s[0:1]
	s_branch .LBB16_32
.LBB16_22:
                                        ; implicit-def: $vgpr2
	s_cbranch_execz .LBB16_32
; %bb.23:
	v_cmp_gt_u32_e32 vcc, 30, v0
	s_and_saveexec_b64 s[0:1], vcc
	s_cbranch_execz .LBB16_25
; %bb.24:
	s_waitcnt lgkmcnt(0)
	ds_read2_b32 v[2:3], v1 offset1:40
	s_waitcnt lgkmcnt(0)
	v_add_f32_e32 v2, v3, v2
	ds_write_b32 v1, v2
.LBB16_25:
	s_or_b64 exec, exec, s[0:1]
	v_cmp_gt_u32_e32 vcc, 20, v0
	s_waitcnt lgkmcnt(0)
	s_barrier
	s_and_saveexec_b64 s[0:1], vcc
	s_cbranch_execz .LBB16_27
; %bb.26:
	ds_read2_b32 v[2:3], v1 offset1:20
	s_waitcnt lgkmcnt(0)
	v_add_f32_e32 v2, v3, v2
	ds_write_b32 v1, v2
.LBB16_27:
	s_or_b64 exec, exec, s[0:1]
	v_cmp_lt_u32_e32 vcc, 9, v0
	s_waitcnt lgkmcnt(0)
	s_and_saveexec_b64 s[0:1], vcc
	s_xor_b64 s[0:1], exec, s[0:1]
; %bb.28:
                                        ; implicit-def: $vgpr1
; %bb.29:
	s_andn2_saveexec_b64 s[0:1], s[0:1]
	s_cbranch_execz .LBB16_31
; %bb.30:
	ds_read2_b32 v[2:3], v1 offset1:10
	s_waitcnt lgkmcnt(0)
	v_add_f32_e32 v2, v3, v2
	ds_write_b32 v1, v2
	s_waitcnt lgkmcnt(0)
	ds_read_b32 v6, v1
.LBB16_31:
	s_or_b64 exec, exec, s[0:1]
	s_waitcnt lgkmcnt(0)
	v_mov_b32_e32 v2, v6
.LBB16_32:
	v_cmp_gt_u32_e32 vcc, 10, v0
	s_and_saveexec_b64 s[0:1], vcc
	s_cbranch_execz .LBB16_36
; %bb.33:
	v_cmp_eq_f32_e64 s[0:1], s8, 0
	s_and_b64 vcc, exec, s[0:1]
	s_waitcnt lgkmcnt(0)
	v_mul_f32_e32 v1, s10, v2
	s_cbranch_vccz .LBB16_37
; %bb.34:
	v_mad_u64_u32 v[2:3], s[0:1], s6, 10, v[0:1]
	v_mov_b32_e32 v3, 0
	v_mov_b32_e32 v4, s13
	v_lshlrev_b64 v[2:3], 2, v[2:3]
	v_add_co_u32_e32 v2, vcc, s12, v2
	v_addc_co_u32_e32 v3, vcc, v4, v3, vcc
	global_store_dword v[2:3], v1, off
	s_cbranch_execnz .LBB16_36
.LBB16_35:
	v_mad_u64_u32 v[2:3], s[0:1], s6, 10, v[0:1]
	v_mov_b32_e32 v3, 0
	v_mov_b32_e32 v0, s13
	v_lshlrev_b64 v[2:3], 2, v[2:3]
	v_add_co_u32_e32 v2, vcc, s12, v2
	v_addc_co_u32_e32 v3, vcc, v0, v3, vcc
	global_load_dword v0, v[2:3], off
	s_waitcnt vmcnt(0)
	v_fmac_f32_e32 v1, s8, v0
	global_store_dword v[2:3], v1, off
.LBB16_36:
	s_endpgm
.LBB16_37:
	s_branch .LBB16_35
	.section	.rodata,"a",@progbits
	.p2align	6, 0x0
	.amdhsa_kernel _ZN9rocsparseL22gebsrmvn_mxn_16_kernelILj70ELj10ELj7EfEEvi20rocsparse_direction_NS_24const_host_device_scalarIT2_EEPKiS6_PKS3_iiS8_S4_PS3_21rocsparse_index_base_b
		.amdhsa_group_segment_fixed_size 280
		.amdhsa_private_segment_fixed_size 0
		.amdhsa_kernarg_size 80
		.amdhsa_user_sgpr_count 6
		.amdhsa_user_sgpr_private_segment_buffer 1
		.amdhsa_user_sgpr_dispatch_ptr 0
		.amdhsa_user_sgpr_queue_ptr 0
		.amdhsa_user_sgpr_kernarg_segment_ptr 1
		.amdhsa_user_sgpr_dispatch_id 0
		.amdhsa_user_sgpr_flat_scratch_init 0
		.amdhsa_user_sgpr_private_segment_size 0
		.amdhsa_uses_dynamic_stack 0
		.amdhsa_system_sgpr_private_segment_wavefront_offset 0
		.amdhsa_system_sgpr_workgroup_id_x 1
		.amdhsa_system_sgpr_workgroup_id_y 0
		.amdhsa_system_sgpr_workgroup_id_z 0
		.amdhsa_system_sgpr_workgroup_info 0
		.amdhsa_system_vgpr_workitem_id 0
		.amdhsa_next_free_vgpr 13
		.amdhsa_next_free_sgpr 22
		.amdhsa_reserve_vcc 1
		.amdhsa_reserve_flat_scratch 0
		.amdhsa_float_round_mode_32 0
		.amdhsa_float_round_mode_16_64 0
		.amdhsa_float_denorm_mode_32 3
		.amdhsa_float_denorm_mode_16_64 3
		.amdhsa_dx10_clamp 1
		.amdhsa_ieee_mode 1
		.amdhsa_fp16_overflow 0
		.amdhsa_exception_fp_ieee_invalid_op 0
		.amdhsa_exception_fp_denorm_src 0
		.amdhsa_exception_fp_ieee_div_zero 0
		.amdhsa_exception_fp_ieee_overflow 0
		.amdhsa_exception_fp_ieee_underflow 0
		.amdhsa_exception_fp_ieee_inexact 0
		.amdhsa_exception_int_div_zero 0
	.end_amdhsa_kernel
	.section	.text._ZN9rocsparseL22gebsrmvn_mxn_16_kernelILj70ELj10ELj7EfEEvi20rocsparse_direction_NS_24const_host_device_scalarIT2_EEPKiS6_PKS3_iiS8_S4_PS3_21rocsparse_index_base_b,"axG",@progbits,_ZN9rocsparseL22gebsrmvn_mxn_16_kernelILj70ELj10ELj7EfEEvi20rocsparse_direction_NS_24const_host_device_scalarIT2_EEPKiS6_PKS3_iiS8_S4_PS3_21rocsparse_index_base_b,comdat
.Lfunc_end16:
	.size	_ZN9rocsparseL22gebsrmvn_mxn_16_kernelILj70ELj10ELj7EfEEvi20rocsparse_direction_NS_24const_host_device_scalarIT2_EEPKiS6_PKS3_iiS8_S4_PS3_21rocsparse_index_base_b, .Lfunc_end16-_ZN9rocsparseL22gebsrmvn_mxn_16_kernelILj70ELj10ELj7EfEEvi20rocsparse_direction_NS_24const_host_device_scalarIT2_EEPKiS6_PKS3_iiS8_S4_PS3_21rocsparse_index_base_b
                                        ; -- End function
	.set _ZN9rocsparseL22gebsrmvn_mxn_16_kernelILj70ELj10ELj7EfEEvi20rocsparse_direction_NS_24const_host_device_scalarIT2_EEPKiS6_PKS3_iiS8_S4_PS3_21rocsparse_index_base_b.num_vgpr, 13
	.set _ZN9rocsparseL22gebsrmvn_mxn_16_kernelILj70ELj10ELj7EfEEvi20rocsparse_direction_NS_24const_host_device_scalarIT2_EEPKiS6_PKS3_iiS8_S4_PS3_21rocsparse_index_base_b.num_agpr, 0
	.set _ZN9rocsparseL22gebsrmvn_mxn_16_kernelILj70ELj10ELj7EfEEvi20rocsparse_direction_NS_24const_host_device_scalarIT2_EEPKiS6_PKS3_iiS8_S4_PS3_21rocsparse_index_base_b.numbered_sgpr, 22
	.set _ZN9rocsparseL22gebsrmvn_mxn_16_kernelILj70ELj10ELj7EfEEvi20rocsparse_direction_NS_24const_host_device_scalarIT2_EEPKiS6_PKS3_iiS8_S4_PS3_21rocsparse_index_base_b.num_named_barrier, 0
	.set _ZN9rocsparseL22gebsrmvn_mxn_16_kernelILj70ELj10ELj7EfEEvi20rocsparse_direction_NS_24const_host_device_scalarIT2_EEPKiS6_PKS3_iiS8_S4_PS3_21rocsparse_index_base_b.private_seg_size, 0
	.set _ZN9rocsparseL22gebsrmvn_mxn_16_kernelILj70ELj10ELj7EfEEvi20rocsparse_direction_NS_24const_host_device_scalarIT2_EEPKiS6_PKS3_iiS8_S4_PS3_21rocsparse_index_base_b.uses_vcc, 1
	.set _ZN9rocsparseL22gebsrmvn_mxn_16_kernelILj70ELj10ELj7EfEEvi20rocsparse_direction_NS_24const_host_device_scalarIT2_EEPKiS6_PKS3_iiS8_S4_PS3_21rocsparse_index_base_b.uses_flat_scratch, 0
	.set _ZN9rocsparseL22gebsrmvn_mxn_16_kernelILj70ELj10ELj7EfEEvi20rocsparse_direction_NS_24const_host_device_scalarIT2_EEPKiS6_PKS3_iiS8_S4_PS3_21rocsparse_index_base_b.has_dyn_sized_stack, 0
	.set _ZN9rocsparseL22gebsrmvn_mxn_16_kernelILj70ELj10ELj7EfEEvi20rocsparse_direction_NS_24const_host_device_scalarIT2_EEPKiS6_PKS3_iiS8_S4_PS3_21rocsparse_index_base_b.has_recursion, 0
	.set _ZN9rocsparseL22gebsrmvn_mxn_16_kernelILj70ELj10ELj7EfEEvi20rocsparse_direction_NS_24const_host_device_scalarIT2_EEPKiS6_PKS3_iiS8_S4_PS3_21rocsparse_index_base_b.has_indirect_call, 0
	.section	.AMDGPU.csdata,"",@progbits
; Kernel info:
; codeLenInByte = 1024
; TotalNumSgprs: 26
; NumVgprs: 13
; ScratchSize: 0
; MemoryBound: 0
; FloatMode: 240
; IeeeMode: 1
; LDSByteSize: 280 bytes/workgroup (compile time only)
; SGPRBlocks: 3
; VGPRBlocks: 3
; NumSGPRsForWavesPerEU: 26
; NumVGPRsForWavesPerEU: 13
; Occupancy: 10
; WaveLimiterHint : 1
; COMPUTE_PGM_RSRC2:SCRATCH_EN: 0
; COMPUTE_PGM_RSRC2:USER_SGPR: 6
; COMPUTE_PGM_RSRC2:TRAP_HANDLER: 0
; COMPUTE_PGM_RSRC2:TGID_X_EN: 1
; COMPUTE_PGM_RSRC2:TGID_Y_EN: 0
; COMPUTE_PGM_RSRC2:TGID_Z_EN: 0
; COMPUTE_PGM_RSRC2:TIDIG_COMP_CNT: 0
	.section	.text._ZN9rocsparseL22gebsrmvn_mxn_16_kernelILj80ELj10ELj8EfEEvi20rocsparse_direction_NS_24const_host_device_scalarIT2_EEPKiS6_PKS3_iiS8_S4_PS3_21rocsparse_index_base_b,"axG",@progbits,_ZN9rocsparseL22gebsrmvn_mxn_16_kernelILj80ELj10ELj8EfEEvi20rocsparse_direction_NS_24const_host_device_scalarIT2_EEPKiS6_PKS3_iiS8_S4_PS3_21rocsparse_index_base_b,comdat
	.globl	_ZN9rocsparseL22gebsrmvn_mxn_16_kernelILj80ELj10ELj8EfEEvi20rocsparse_direction_NS_24const_host_device_scalarIT2_EEPKiS6_PKS3_iiS8_S4_PS3_21rocsparse_index_base_b ; -- Begin function _ZN9rocsparseL22gebsrmvn_mxn_16_kernelILj80ELj10ELj8EfEEvi20rocsparse_direction_NS_24const_host_device_scalarIT2_EEPKiS6_PKS3_iiS8_S4_PS3_21rocsparse_index_base_b
	.p2align	8
	.type	_ZN9rocsparseL22gebsrmvn_mxn_16_kernelILj80ELj10ELj8EfEEvi20rocsparse_direction_NS_24const_host_device_scalarIT2_EEPKiS6_PKS3_iiS8_S4_PS3_21rocsparse_index_base_b,@function
_ZN9rocsparseL22gebsrmvn_mxn_16_kernelILj80ELj10ELj8EfEEvi20rocsparse_direction_NS_24const_host_device_scalarIT2_EEPKiS6_PKS3_iiS8_S4_PS3_21rocsparse_index_base_b: ; @_ZN9rocsparseL22gebsrmvn_mxn_16_kernelILj80ELj10ELj8EfEEvi20rocsparse_direction_NS_24const_host_device_scalarIT2_EEPKiS6_PKS3_iiS8_S4_PS3_21rocsparse_index_base_b
; %bb.0:
	s_load_dwordx2 s[14:15], s[4:5], 0x48
	s_load_dwordx2 s[10:11], s[4:5], 0x8
	;; [unrolled: 1-line block ×3, first 2 shown]
	s_waitcnt lgkmcnt(0)
	s_bitcmp1_b32 s15, 0
	s_cselect_b64 s[2:3], -1, 0
	s_xor_b64 s[0:1], s[2:3], -1
	s_and_b64 vcc, exec, s[2:3]
	s_cbranch_vccnz .LBB17_2
; %bb.1:
	s_load_dword s10, s[10:11], 0x0
.LBB17_2:
	s_andn2_b64 vcc, exec, s[0:1]
	s_cbranch_vccnz .LBB17_4
; %bb.3:
	s_load_dword s8, s[8:9], 0x0
.LBB17_4:
	s_waitcnt lgkmcnt(0)
	v_cmp_eq_f32_e64 s[0:1], s10, 0
	v_cmp_eq_f32_e64 s[2:3], s8, 1.0
	s_and_b64 s[0:1], s[0:1], s[2:3]
	s_and_b64 vcc, exec, s[0:1]
	s_cbranch_vccnz .LBB17_36
; %bb.5:
	s_load_dword s2, s[4:5], 0x4
	s_load_dwordx2 s[0:1], s[4:5], 0x10
	v_and_b32_e32 v6, 7, v0
	v_mov_b32_e32 v7, v6
	s_waitcnt lgkmcnt(0)
	s_cmp_lg_u32 s2, 1
	s_cselect_b64 s[16:17], -1, 0
	s_and_b64 vcc, exec, s[16:17]
	s_cbranch_vccnz .LBB17_7
; %bb.6:
	v_mul_u32_u24_e32 v1, 0x199a, v0
	v_bfe_u32 v7, v1, 16, 3
.LBB17_7:
	s_ashr_i32 s7, s6, 31
	s_lshl_b64 s[2:3], s[6:7], 2
	s_add_u32 s0, s0, s2
	s_addc_u32 s1, s1, s3
	s_load_dwordx2 s[20:21], s[0:1], 0x0
	s_load_dwordx2 s[12:13], s[4:5], 0x40
	v_mov_b32_e32 v5, 0
	s_waitcnt lgkmcnt(0)
	s_cmp_ge_i32 s20, s21
	s_cbranch_scc1 .LBB17_12
; %bb.8:
	s_load_dwordx4 s[0:3], s[4:5], 0x18
	s_load_dwordx2 s[18:19], s[4:5], 0x30
	s_mul_i32 s4, s20, 0x50
	v_add_u32_e32 v1, s4, v0
	s_mul_i32 s4, s14, 0x50
	v_mov_b32_e32 v2, 0
	s_sub_i32 s7, s21, s14
	s_sub_i32 s9, s20, s14
	v_mul_u32_u24_e32 v8, 0x334, v0
	v_subrev_u32_e32 v1, s4, v1
	v_mov_b32_e32 v5, v2
	s_branch .LBB17_10
.LBB17_9:                               ;   in Loop: Header=BB17_10 Depth=1
	s_or_b64 exec, exec, s[4:5]
	s_add_i32 s9, s9, 1
	s_cmp_ge_i32 s9, s7
	v_add_u32_e32 v1, 0x50, v1
	s_cbranch_scc1 .LBB17_12
.LBB17_10:                              ; =>This Inner Loop Header: Depth=1
	v_add_u32_sdwa v3, v8, s9 dst_sel:DWORD dst_unused:UNUSED_PAD src0_sel:WORD_1 src1_sel:DWORD
	v_cmp_gt_i32_e32 vcc, s7, v3
	s_and_saveexec_b64 s[4:5], vcc
	s_cbranch_execz .LBB17_9
; %bb.11:                               ;   in Loop: Header=BB17_10 Depth=1
	v_ashrrev_i32_e32 v4, 31, v3
	v_lshlrev_b64 v[3:4], 2, v[3:4]
	s_waitcnt lgkmcnt(0)
	v_mov_b32_e32 v9, s1
	v_add_co_u32_e32 v3, vcc, s0, v3
	v_addc_co_u32_e32 v4, vcc, v9, v4, vcc
	global_load_dword v9, v[3:4], off
	v_lshlrev_b64 v[3:4], 2, v[1:2]
	v_mov_b32_e32 v10, s3
	v_add_co_u32_e32 v3, vcc, s2, v3
	v_addc_co_u32_e32 v4, vcc, v10, v4, vcc
	global_load_dword v10, v[3:4], off
	v_mov_b32_e32 v11, s19
	s_waitcnt vmcnt(1)
	v_subrev_u32_e32 v3, s14, v9
	v_lshl_or_b32 v3, v3, 3, v7
	v_ashrrev_i32_e32 v4, 31, v3
	v_lshlrev_b64 v[3:4], 2, v[3:4]
	v_add_co_u32_e32 v3, vcc, s18, v3
	v_addc_co_u32_e32 v4, vcc, v11, v4, vcc
	global_load_dword v3, v[3:4], off
	s_waitcnt vmcnt(0)
	v_fmac_f32_e32 v5, v10, v3
	s_branch .LBB17_9
.LBB17_12:
	v_lshlrev_b32_e32 v1, 2, v0
	s_and_b64 vcc, exec, s[16:17]
	ds_write_b32 v1, v5
	s_waitcnt lgkmcnt(0)
	s_barrier
	s_cbranch_vccz .LBB17_22
; %bb.13:
	v_cmp_gt_u32_e32 vcc, 4, v6
	s_and_saveexec_b64 s[0:1], vcc
	s_cbranch_execz .LBB17_15
; %bb.14:
	ds_read2_b32 v[2:3], v1 offset1:4
	s_waitcnt lgkmcnt(0)
	v_add_f32_e32 v2, v3, v2
	ds_write_b32 v1, v2
.LBB17_15:
	s_or_b64 exec, exec, s[0:1]
	v_cmp_gt_u32_e32 vcc, 2, v6
	s_waitcnt lgkmcnt(0)
	s_barrier
	s_and_saveexec_b64 s[0:1], vcc
	s_cbranch_execz .LBB17_17
; %bb.16:
	ds_read2_b32 v[2:3], v1 offset1:2
	s_waitcnt lgkmcnt(0)
	v_add_f32_e32 v2, v3, v2
	ds_write_b32 v1, v2
.LBB17_17:
	s_or_b64 exec, exec, s[0:1]
	v_cmp_eq_u32_e32 vcc, 0, v6
	s_waitcnt lgkmcnt(0)
	s_barrier
	s_and_saveexec_b64 s[0:1], vcc
	s_cbranch_execz .LBB17_19
; %bb.18:
	ds_read2_b32 v[2:3], v1 offset1:1
	s_waitcnt lgkmcnt(0)
	v_add_f32_e32 v2, v3, v2
	ds_write_b32 v1, v2
.LBB17_19:
	s_or_b64 exec, exec, s[0:1]
	v_cmp_gt_u32_e32 vcc, 10, v0
	v_mov_b32_e32 v2, v5
	s_waitcnt lgkmcnt(0)
	s_barrier
	s_and_saveexec_b64 s[0:1], vcc
; %bb.20:
	v_mad_u32_u24 v2, v0, 28, v1
	ds_read_b32 v2, v2
; %bb.21:
	s_or_b64 exec, exec, s[0:1]
	s_branch .LBB17_32
.LBB17_22:
                                        ; implicit-def: $vgpr2
	s_cbranch_execz .LBB17_32
; %bb.23:
	v_cmp_gt_u32_e32 vcc, 40, v0
	s_and_saveexec_b64 s[0:1], vcc
	s_cbranch_execz .LBB17_25
; %bb.24:
	s_waitcnt lgkmcnt(0)
	ds_read2_b32 v[2:3], v1 offset1:40
	s_waitcnt lgkmcnt(0)
	v_add_f32_e32 v2, v3, v2
	ds_write_b32 v1, v2
.LBB17_25:
	s_or_b64 exec, exec, s[0:1]
	v_cmp_gt_u32_e32 vcc, 20, v0
	s_waitcnt lgkmcnt(0)
	s_barrier
	s_and_saveexec_b64 s[0:1], vcc
	s_cbranch_execz .LBB17_27
; %bb.26:
	ds_read2_b32 v[2:3], v1 offset1:20
	s_waitcnt lgkmcnt(0)
	v_add_f32_e32 v2, v3, v2
	ds_write_b32 v1, v2
.LBB17_27:
	s_or_b64 exec, exec, s[0:1]
	v_cmp_lt_u32_e32 vcc, 9, v0
	s_waitcnt lgkmcnt(0)
	s_and_saveexec_b64 s[0:1], vcc
	s_xor_b64 s[0:1], exec, s[0:1]
; %bb.28:
                                        ; implicit-def: $vgpr1
; %bb.29:
	s_andn2_saveexec_b64 s[0:1], s[0:1]
	s_cbranch_execz .LBB17_31
; %bb.30:
	ds_read2_b32 v[2:3], v1 offset1:10
	s_waitcnt lgkmcnt(0)
	v_add_f32_e32 v2, v3, v2
	ds_write_b32 v1, v2
	s_waitcnt lgkmcnt(0)
	ds_read_b32 v5, v1
.LBB17_31:
	s_or_b64 exec, exec, s[0:1]
	s_waitcnt lgkmcnt(0)
	v_mov_b32_e32 v2, v5
.LBB17_32:
	v_cmp_gt_u32_e32 vcc, 10, v0
	s_and_saveexec_b64 s[0:1], vcc
	s_cbranch_execz .LBB17_36
; %bb.33:
	v_cmp_eq_f32_e64 s[0:1], s8, 0
	s_and_b64 vcc, exec, s[0:1]
	s_waitcnt lgkmcnt(0)
	v_mul_f32_e32 v1, s10, v2
	s_cbranch_vccz .LBB17_37
; %bb.34:
	v_mad_u64_u32 v[2:3], s[0:1], s6, 10, v[0:1]
	v_mov_b32_e32 v3, 0
	v_mov_b32_e32 v4, s13
	v_lshlrev_b64 v[2:3], 2, v[2:3]
	v_add_co_u32_e32 v2, vcc, s12, v2
	v_addc_co_u32_e32 v3, vcc, v4, v3, vcc
	global_store_dword v[2:3], v1, off
	s_cbranch_execnz .LBB17_36
.LBB17_35:
	v_mad_u64_u32 v[2:3], s[0:1], s6, 10, v[0:1]
	v_mov_b32_e32 v3, 0
	v_mov_b32_e32 v0, s13
	v_lshlrev_b64 v[2:3], 2, v[2:3]
	v_add_co_u32_e32 v2, vcc, s12, v2
	v_addc_co_u32_e32 v3, vcc, v0, v3, vcc
	global_load_dword v0, v[2:3], off
	s_waitcnt vmcnt(0)
	v_fmac_f32_e32 v1, s8, v0
	global_store_dword v[2:3], v1, off
.LBB17_36:
	s_endpgm
.LBB17_37:
	s_branch .LBB17_35
	.section	.rodata,"a",@progbits
	.p2align	6, 0x0
	.amdhsa_kernel _ZN9rocsparseL22gebsrmvn_mxn_16_kernelILj80ELj10ELj8EfEEvi20rocsparse_direction_NS_24const_host_device_scalarIT2_EEPKiS6_PKS3_iiS8_S4_PS3_21rocsparse_index_base_b
		.amdhsa_group_segment_fixed_size 320
		.amdhsa_private_segment_fixed_size 0
		.amdhsa_kernarg_size 80
		.amdhsa_user_sgpr_count 6
		.amdhsa_user_sgpr_private_segment_buffer 1
		.amdhsa_user_sgpr_dispatch_ptr 0
		.amdhsa_user_sgpr_queue_ptr 0
		.amdhsa_user_sgpr_kernarg_segment_ptr 1
		.amdhsa_user_sgpr_dispatch_id 0
		.amdhsa_user_sgpr_flat_scratch_init 0
		.amdhsa_user_sgpr_private_segment_size 0
		.amdhsa_uses_dynamic_stack 0
		.amdhsa_system_sgpr_private_segment_wavefront_offset 0
		.amdhsa_system_sgpr_workgroup_id_x 1
		.amdhsa_system_sgpr_workgroup_id_y 0
		.amdhsa_system_sgpr_workgroup_id_z 0
		.amdhsa_system_sgpr_workgroup_info 0
		.amdhsa_system_vgpr_workitem_id 0
		.amdhsa_next_free_vgpr 12
		.amdhsa_next_free_sgpr 22
		.amdhsa_reserve_vcc 1
		.amdhsa_reserve_flat_scratch 0
		.amdhsa_float_round_mode_32 0
		.amdhsa_float_round_mode_16_64 0
		.amdhsa_float_denorm_mode_32 3
		.amdhsa_float_denorm_mode_16_64 3
		.amdhsa_dx10_clamp 1
		.amdhsa_ieee_mode 1
		.amdhsa_fp16_overflow 0
		.amdhsa_exception_fp_ieee_invalid_op 0
		.amdhsa_exception_fp_denorm_src 0
		.amdhsa_exception_fp_ieee_div_zero 0
		.amdhsa_exception_fp_ieee_overflow 0
		.amdhsa_exception_fp_ieee_underflow 0
		.amdhsa_exception_fp_ieee_inexact 0
		.amdhsa_exception_int_div_zero 0
	.end_amdhsa_kernel
	.section	.text._ZN9rocsparseL22gebsrmvn_mxn_16_kernelILj80ELj10ELj8EfEEvi20rocsparse_direction_NS_24const_host_device_scalarIT2_EEPKiS6_PKS3_iiS8_S4_PS3_21rocsparse_index_base_b,"axG",@progbits,_ZN9rocsparseL22gebsrmvn_mxn_16_kernelILj80ELj10ELj8EfEEvi20rocsparse_direction_NS_24const_host_device_scalarIT2_EEPKiS6_PKS3_iiS8_S4_PS3_21rocsparse_index_base_b,comdat
.Lfunc_end17:
	.size	_ZN9rocsparseL22gebsrmvn_mxn_16_kernelILj80ELj10ELj8EfEEvi20rocsparse_direction_NS_24const_host_device_scalarIT2_EEPKiS6_PKS3_iiS8_S4_PS3_21rocsparse_index_base_b, .Lfunc_end17-_ZN9rocsparseL22gebsrmvn_mxn_16_kernelILj80ELj10ELj8EfEEvi20rocsparse_direction_NS_24const_host_device_scalarIT2_EEPKiS6_PKS3_iiS8_S4_PS3_21rocsparse_index_base_b
                                        ; -- End function
	.set _ZN9rocsparseL22gebsrmvn_mxn_16_kernelILj80ELj10ELj8EfEEvi20rocsparse_direction_NS_24const_host_device_scalarIT2_EEPKiS6_PKS3_iiS8_S4_PS3_21rocsparse_index_base_b.num_vgpr, 12
	.set _ZN9rocsparseL22gebsrmvn_mxn_16_kernelILj80ELj10ELj8EfEEvi20rocsparse_direction_NS_24const_host_device_scalarIT2_EEPKiS6_PKS3_iiS8_S4_PS3_21rocsparse_index_base_b.num_agpr, 0
	.set _ZN9rocsparseL22gebsrmvn_mxn_16_kernelILj80ELj10ELj8EfEEvi20rocsparse_direction_NS_24const_host_device_scalarIT2_EEPKiS6_PKS3_iiS8_S4_PS3_21rocsparse_index_base_b.numbered_sgpr, 22
	.set _ZN9rocsparseL22gebsrmvn_mxn_16_kernelILj80ELj10ELj8EfEEvi20rocsparse_direction_NS_24const_host_device_scalarIT2_EEPKiS6_PKS3_iiS8_S4_PS3_21rocsparse_index_base_b.num_named_barrier, 0
	.set _ZN9rocsparseL22gebsrmvn_mxn_16_kernelILj80ELj10ELj8EfEEvi20rocsparse_direction_NS_24const_host_device_scalarIT2_EEPKiS6_PKS3_iiS8_S4_PS3_21rocsparse_index_base_b.private_seg_size, 0
	.set _ZN9rocsparseL22gebsrmvn_mxn_16_kernelILj80ELj10ELj8EfEEvi20rocsparse_direction_NS_24const_host_device_scalarIT2_EEPKiS6_PKS3_iiS8_S4_PS3_21rocsparse_index_base_b.uses_vcc, 1
	.set _ZN9rocsparseL22gebsrmvn_mxn_16_kernelILj80ELj10ELj8EfEEvi20rocsparse_direction_NS_24const_host_device_scalarIT2_EEPKiS6_PKS3_iiS8_S4_PS3_21rocsparse_index_base_b.uses_flat_scratch, 0
	.set _ZN9rocsparseL22gebsrmvn_mxn_16_kernelILj80ELj10ELj8EfEEvi20rocsparse_direction_NS_24const_host_device_scalarIT2_EEPKiS6_PKS3_iiS8_S4_PS3_21rocsparse_index_base_b.has_dyn_sized_stack, 0
	.set _ZN9rocsparseL22gebsrmvn_mxn_16_kernelILj80ELj10ELj8EfEEvi20rocsparse_direction_NS_24const_host_device_scalarIT2_EEPKiS6_PKS3_iiS8_S4_PS3_21rocsparse_index_base_b.has_recursion, 0
	.set _ZN9rocsparseL22gebsrmvn_mxn_16_kernelILj80ELj10ELj8EfEEvi20rocsparse_direction_NS_24const_host_device_scalarIT2_EEPKiS6_PKS3_iiS8_S4_PS3_21rocsparse_index_base_b.has_indirect_call, 0
	.section	.AMDGPU.csdata,"",@progbits
; Kernel info:
; codeLenInByte = 968
; TotalNumSgprs: 26
; NumVgprs: 12
; ScratchSize: 0
; MemoryBound: 0
; FloatMode: 240
; IeeeMode: 1
; LDSByteSize: 320 bytes/workgroup (compile time only)
; SGPRBlocks: 3
; VGPRBlocks: 2
; NumSGPRsForWavesPerEU: 26
; NumVGPRsForWavesPerEU: 12
; Occupancy: 10
; WaveLimiterHint : 1
; COMPUTE_PGM_RSRC2:SCRATCH_EN: 0
; COMPUTE_PGM_RSRC2:USER_SGPR: 6
; COMPUTE_PGM_RSRC2:TRAP_HANDLER: 0
; COMPUTE_PGM_RSRC2:TGID_X_EN: 1
; COMPUTE_PGM_RSRC2:TGID_Y_EN: 0
; COMPUTE_PGM_RSRC2:TGID_Z_EN: 0
; COMPUTE_PGM_RSRC2:TIDIG_COMP_CNT: 0
	.section	.text._ZN9rocsparseL22gebsrmvn_mxn_16_kernelILj55ELj11ELj1EfEEvi20rocsparse_direction_NS_24const_host_device_scalarIT2_EEPKiS6_PKS3_iiS8_S4_PS3_21rocsparse_index_base_b,"axG",@progbits,_ZN9rocsparseL22gebsrmvn_mxn_16_kernelILj55ELj11ELj1EfEEvi20rocsparse_direction_NS_24const_host_device_scalarIT2_EEPKiS6_PKS3_iiS8_S4_PS3_21rocsparse_index_base_b,comdat
	.globl	_ZN9rocsparseL22gebsrmvn_mxn_16_kernelILj55ELj11ELj1EfEEvi20rocsparse_direction_NS_24const_host_device_scalarIT2_EEPKiS6_PKS3_iiS8_S4_PS3_21rocsparse_index_base_b ; -- Begin function _ZN9rocsparseL22gebsrmvn_mxn_16_kernelILj55ELj11ELj1EfEEvi20rocsparse_direction_NS_24const_host_device_scalarIT2_EEPKiS6_PKS3_iiS8_S4_PS3_21rocsparse_index_base_b
	.p2align	8
	.type	_ZN9rocsparseL22gebsrmvn_mxn_16_kernelILj55ELj11ELj1EfEEvi20rocsparse_direction_NS_24const_host_device_scalarIT2_EEPKiS6_PKS3_iiS8_S4_PS3_21rocsparse_index_base_b,@function
_ZN9rocsparseL22gebsrmvn_mxn_16_kernelILj55ELj11ELj1EfEEvi20rocsparse_direction_NS_24const_host_device_scalarIT2_EEPKiS6_PKS3_iiS8_S4_PS3_21rocsparse_index_base_b: ; @_ZN9rocsparseL22gebsrmvn_mxn_16_kernelILj55ELj11ELj1EfEEvi20rocsparse_direction_NS_24const_host_device_scalarIT2_EEPKiS6_PKS3_iiS8_S4_PS3_21rocsparse_index_base_b
; %bb.0:
	s_load_dwordx2 s[14:15], s[4:5], 0x48
	s_load_dwordx2 s[10:11], s[4:5], 0x8
	;; [unrolled: 1-line block ×3, first 2 shown]
	s_waitcnt lgkmcnt(0)
	s_bitcmp1_b32 s15, 0
	s_cselect_b64 s[2:3], -1, 0
	s_xor_b64 s[0:1], s[2:3], -1
	s_and_b64 vcc, exec, s[2:3]
	s_cbranch_vccnz .LBB18_2
; %bb.1:
	s_load_dword s10, s[10:11], 0x0
.LBB18_2:
	s_andn2_b64 vcc, exec, s[0:1]
	s_cbranch_vccnz .LBB18_4
; %bb.3:
	s_load_dword s8, s[8:9], 0x0
.LBB18_4:
	s_waitcnt lgkmcnt(0)
	v_cmp_eq_f32_e64 s[0:1], s10, 0
	v_cmp_eq_f32_e64 s[2:3], s8, 1.0
	s_and_b64 s[0:1], s[0:1], s[2:3]
	s_and_b64 vcc, exec, s[0:1]
	s_cbranch_vccnz .LBB18_22
; %bb.5:
	s_load_dwordx2 s[0:1], s[4:5], 0x10
	s_ashr_i32 s7, s6, 31
	s_lshl_b64 s[2:3], s[6:7], 2
	s_waitcnt lgkmcnt(0)
	s_add_u32 s0, s0, s2
	s_addc_u32 s1, s1, s3
	s_load_dwordx2 s[18:19], s[0:1], 0x0
	s_waitcnt lgkmcnt(0)
	s_cmp_lt_i32 s18, s19
	s_cbranch_scc1 .LBB18_7
; %bb.6:
	s_load_dwordx2 s[12:13], s[4:5], 0x40
	v_mov_b32_e32 v5, 0
	s_cbranch_execz .LBB18_8
	s_branch .LBB18_12
.LBB18_7:
	s_load_dwordx2 s[12:13], s[4:5], 0x40
	v_mov_b32_e32 v5, 0
.LBB18_8:
	s_load_dwordx4 s[0:3], s[4:5], 0x18
	s_load_dwordx2 s[16:17], s[4:5], 0x30
	v_mad_u64_u32 v[1:2], s[4:5], s18, 11, v[0:1]
	s_mul_i32 s4, s14, 11
	v_mov_b32_e32 v2, 0
	s_sub_i32 s7, s19, s14
	s_sub_i32 s9, s18, s14
	v_mul_u32_u24_e32 v6, 0x1746, v0
	v_subrev_u32_e32 v1, s4, v1
	v_mov_b32_e32 v5, v2
	s_branch .LBB18_10
.LBB18_9:                               ;   in Loop: Header=BB18_10 Depth=1
	s_or_b64 exec, exec, s[4:5]
	s_add_i32 s9, s9, 5
	s_cmp_ge_i32 s9, s7
	v_add_u32_e32 v1, 55, v1
	s_cbranch_scc1 .LBB18_12
.LBB18_10:                              ; =>This Inner Loop Header: Depth=1
	v_add_u32_sdwa v3, v6, s9 dst_sel:DWORD dst_unused:UNUSED_PAD src0_sel:WORD_1 src1_sel:DWORD
	v_cmp_gt_i32_e32 vcc, s7, v3
	s_and_saveexec_b64 s[4:5], vcc
	s_cbranch_execz .LBB18_9
; %bb.11:                               ;   in Loop: Header=BB18_10 Depth=1
	v_ashrrev_i32_e32 v4, 31, v3
	v_lshlrev_b64 v[3:4], 2, v[3:4]
	s_waitcnt lgkmcnt(0)
	v_mov_b32_e32 v7, s1
	v_add_co_u32_e32 v3, vcc, s0, v3
	v_addc_co_u32_e32 v4, vcc, v7, v4, vcc
	global_load_dword v7, v[3:4], off
	v_lshlrev_b64 v[3:4], 2, v[1:2]
	v_mov_b32_e32 v8, s3
	v_add_co_u32_e32 v3, vcc, s2, v3
	v_addc_co_u32_e32 v4, vcc, v8, v4, vcc
	global_load_dword v8, v[3:4], off
	v_mov_b32_e32 v9, s17
	s_waitcnt vmcnt(1)
	v_subrev_u32_e32 v3, s14, v7
	v_ashrrev_i32_e32 v4, 31, v3
	v_lshlrev_b64 v[3:4], 2, v[3:4]
	v_add_co_u32_e32 v3, vcc, s16, v3
	v_addc_co_u32_e32 v4, vcc, v9, v4, vcc
	global_load_dword v3, v[3:4], off
	s_waitcnt vmcnt(0)
	v_fmac_f32_e32 v5, v8, v3
	s_branch .LBB18_9
.LBB18_12:
	v_lshlrev_b32_e32 v1, 2, v0
	v_cmp_gt_u32_e32 vcc, 11, v0
	ds_write_b32 v1, v5
	s_waitcnt lgkmcnt(0)
	; wave barrier
	s_and_saveexec_b64 s[0:1], vcc
	s_cbranch_execz .LBB18_14
; %bb.13:
	ds_read2_b32 v[2:3], v1 offset1:44
	s_waitcnt lgkmcnt(0)
	v_add_f32_e32 v2, v3, v2
	ds_write_b32 v1, v2
.LBB18_14:
	s_or_b64 exec, exec, s[0:1]
	v_cmp_gt_u32_e64 s[0:1], 22, v0
	s_waitcnt lgkmcnt(0)
	; wave barrier
	s_and_saveexec_b64 s[2:3], s[0:1]
	s_cbranch_execz .LBB18_16
; %bb.15:
	ds_read2_b32 v[2:3], v1 offset1:22
	s_waitcnt lgkmcnt(0)
	v_add_f32_e32 v2, v3, v2
	ds_write_b32 v1, v2
.LBB18_16:
	s_or_b64 exec, exec, s[2:3]
	s_waitcnt lgkmcnt(0)
	; wave barrier
	s_and_saveexec_b64 s[0:1], vcc
	s_cbranch_execz .LBB18_18
; %bb.17:
	ds_read2_b32 v[2:3], v1 offset1:11
	s_waitcnt lgkmcnt(0)
	v_add_f32_e32 v2, v3, v2
	ds_write_b32 v1, v2
.LBB18_18:
	s_or_b64 exec, exec, s[0:1]
	s_waitcnt lgkmcnt(0)
	; wave barrier
	s_and_saveexec_b64 s[0:1], vcc
	s_cbranch_execz .LBB18_22
; %bb.19:
	ds_read_b32 v1, v1
	v_cmp_eq_f32_e64 s[0:1], s8, 0
	s_and_b64 vcc, exec, s[0:1]
	s_waitcnt lgkmcnt(0)
	v_mul_f32_e32 v1, s10, v1
	s_cbranch_vccz .LBB18_23
; %bb.20:
	v_mad_u64_u32 v[2:3], s[0:1], s6, 11, v[0:1]
	v_mov_b32_e32 v3, 0
	v_mov_b32_e32 v4, s13
	v_lshlrev_b64 v[2:3], 2, v[2:3]
	v_add_co_u32_e32 v2, vcc, s12, v2
	v_addc_co_u32_e32 v3, vcc, v4, v3, vcc
	global_store_dword v[2:3], v1, off
	s_cbranch_execnz .LBB18_22
.LBB18_21:
	v_mad_u64_u32 v[2:3], s[0:1], s6, 11, v[0:1]
	v_mov_b32_e32 v3, 0
	v_mov_b32_e32 v0, s13
	v_lshlrev_b64 v[2:3], 2, v[2:3]
	v_add_co_u32_e32 v2, vcc, s12, v2
	v_addc_co_u32_e32 v3, vcc, v0, v3, vcc
	global_load_dword v0, v[2:3], off
	s_waitcnt vmcnt(0)
	v_fmac_f32_e32 v1, s8, v0
	global_store_dword v[2:3], v1, off
.LBB18_22:
	s_endpgm
.LBB18_23:
	s_branch .LBB18_21
	.section	.rodata,"a",@progbits
	.p2align	6, 0x0
	.amdhsa_kernel _ZN9rocsparseL22gebsrmvn_mxn_16_kernelILj55ELj11ELj1EfEEvi20rocsparse_direction_NS_24const_host_device_scalarIT2_EEPKiS6_PKS3_iiS8_S4_PS3_21rocsparse_index_base_b
		.amdhsa_group_segment_fixed_size 220
		.amdhsa_private_segment_fixed_size 0
		.amdhsa_kernarg_size 80
		.amdhsa_user_sgpr_count 6
		.amdhsa_user_sgpr_private_segment_buffer 1
		.amdhsa_user_sgpr_dispatch_ptr 0
		.amdhsa_user_sgpr_queue_ptr 0
		.amdhsa_user_sgpr_kernarg_segment_ptr 1
		.amdhsa_user_sgpr_dispatch_id 0
		.amdhsa_user_sgpr_flat_scratch_init 0
		.amdhsa_user_sgpr_private_segment_size 0
		.amdhsa_uses_dynamic_stack 0
		.amdhsa_system_sgpr_private_segment_wavefront_offset 0
		.amdhsa_system_sgpr_workgroup_id_x 1
		.amdhsa_system_sgpr_workgroup_id_y 0
		.amdhsa_system_sgpr_workgroup_id_z 0
		.amdhsa_system_sgpr_workgroup_info 0
		.amdhsa_system_vgpr_workitem_id 0
		.amdhsa_next_free_vgpr 10
		.amdhsa_next_free_sgpr 20
		.amdhsa_reserve_vcc 1
		.amdhsa_reserve_flat_scratch 0
		.amdhsa_float_round_mode_32 0
		.amdhsa_float_round_mode_16_64 0
		.amdhsa_float_denorm_mode_32 3
		.amdhsa_float_denorm_mode_16_64 3
		.amdhsa_dx10_clamp 1
		.amdhsa_ieee_mode 1
		.amdhsa_fp16_overflow 0
		.amdhsa_exception_fp_ieee_invalid_op 0
		.amdhsa_exception_fp_denorm_src 0
		.amdhsa_exception_fp_ieee_div_zero 0
		.amdhsa_exception_fp_ieee_overflow 0
		.amdhsa_exception_fp_ieee_underflow 0
		.amdhsa_exception_fp_ieee_inexact 0
		.amdhsa_exception_int_div_zero 0
	.end_amdhsa_kernel
	.section	.text._ZN9rocsparseL22gebsrmvn_mxn_16_kernelILj55ELj11ELj1EfEEvi20rocsparse_direction_NS_24const_host_device_scalarIT2_EEPKiS6_PKS3_iiS8_S4_PS3_21rocsparse_index_base_b,"axG",@progbits,_ZN9rocsparseL22gebsrmvn_mxn_16_kernelILj55ELj11ELj1EfEEvi20rocsparse_direction_NS_24const_host_device_scalarIT2_EEPKiS6_PKS3_iiS8_S4_PS3_21rocsparse_index_base_b,comdat
.Lfunc_end18:
	.size	_ZN9rocsparseL22gebsrmvn_mxn_16_kernelILj55ELj11ELj1EfEEvi20rocsparse_direction_NS_24const_host_device_scalarIT2_EEPKiS6_PKS3_iiS8_S4_PS3_21rocsparse_index_base_b, .Lfunc_end18-_ZN9rocsparseL22gebsrmvn_mxn_16_kernelILj55ELj11ELj1EfEEvi20rocsparse_direction_NS_24const_host_device_scalarIT2_EEPKiS6_PKS3_iiS8_S4_PS3_21rocsparse_index_base_b
                                        ; -- End function
	.set _ZN9rocsparseL22gebsrmvn_mxn_16_kernelILj55ELj11ELj1EfEEvi20rocsparse_direction_NS_24const_host_device_scalarIT2_EEPKiS6_PKS3_iiS8_S4_PS3_21rocsparse_index_base_b.num_vgpr, 10
	.set _ZN9rocsparseL22gebsrmvn_mxn_16_kernelILj55ELj11ELj1EfEEvi20rocsparse_direction_NS_24const_host_device_scalarIT2_EEPKiS6_PKS3_iiS8_S4_PS3_21rocsparse_index_base_b.num_agpr, 0
	.set _ZN9rocsparseL22gebsrmvn_mxn_16_kernelILj55ELj11ELj1EfEEvi20rocsparse_direction_NS_24const_host_device_scalarIT2_EEPKiS6_PKS3_iiS8_S4_PS3_21rocsparse_index_base_b.numbered_sgpr, 20
	.set _ZN9rocsparseL22gebsrmvn_mxn_16_kernelILj55ELj11ELj1EfEEvi20rocsparse_direction_NS_24const_host_device_scalarIT2_EEPKiS6_PKS3_iiS8_S4_PS3_21rocsparse_index_base_b.num_named_barrier, 0
	.set _ZN9rocsparseL22gebsrmvn_mxn_16_kernelILj55ELj11ELj1EfEEvi20rocsparse_direction_NS_24const_host_device_scalarIT2_EEPKiS6_PKS3_iiS8_S4_PS3_21rocsparse_index_base_b.private_seg_size, 0
	.set _ZN9rocsparseL22gebsrmvn_mxn_16_kernelILj55ELj11ELj1EfEEvi20rocsparse_direction_NS_24const_host_device_scalarIT2_EEPKiS6_PKS3_iiS8_S4_PS3_21rocsparse_index_base_b.uses_vcc, 1
	.set _ZN9rocsparseL22gebsrmvn_mxn_16_kernelILj55ELj11ELj1EfEEvi20rocsparse_direction_NS_24const_host_device_scalarIT2_EEPKiS6_PKS3_iiS8_S4_PS3_21rocsparse_index_base_b.uses_flat_scratch, 0
	.set _ZN9rocsparseL22gebsrmvn_mxn_16_kernelILj55ELj11ELj1EfEEvi20rocsparse_direction_NS_24const_host_device_scalarIT2_EEPKiS6_PKS3_iiS8_S4_PS3_21rocsparse_index_base_b.has_dyn_sized_stack, 0
	.set _ZN9rocsparseL22gebsrmvn_mxn_16_kernelILj55ELj11ELj1EfEEvi20rocsparse_direction_NS_24const_host_device_scalarIT2_EEPKiS6_PKS3_iiS8_S4_PS3_21rocsparse_index_base_b.has_recursion, 0
	.set _ZN9rocsparseL22gebsrmvn_mxn_16_kernelILj55ELj11ELj1EfEEvi20rocsparse_direction_NS_24const_host_device_scalarIT2_EEPKiS6_PKS3_iiS8_S4_PS3_21rocsparse_index_base_b.has_indirect_call, 0
	.section	.AMDGPU.csdata,"",@progbits
; Kernel info:
; codeLenInByte = 696
; TotalNumSgprs: 24
; NumVgprs: 10
; ScratchSize: 0
; MemoryBound: 0
; FloatMode: 240
; IeeeMode: 1
; LDSByteSize: 220 bytes/workgroup (compile time only)
; SGPRBlocks: 2
; VGPRBlocks: 2
; NumSGPRsForWavesPerEU: 24
; NumVGPRsForWavesPerEU: 10
; Occupancy: 10
; WaveLimiterHint : 1
; COMPUTE_PGM_RSRC2:SCRATCH_EN: 0
; COMPUTE_PGM_RSRC2:USER_SGPR: 6
; COMPUTE_PGM_RSRC2:TRAP_HANDLER: 0
; COMPUTE_PGM_RSRC2:TGID_X_EN: 1
; COMPUTE_PGM_RSRC2:TGID_Y_EN: 0
; COMPUTE_PGM_RSRC2:TGID_Z_EN: 0
; COMPUTE_PGM_RSRC2:TIDIG_COMP_CNT: 0
	.section	.text._ZN9rocsparseL22gebsrmvn_mxn_16_kernelILj44ELj11ELj2EfEEvi20rocsparse_direction_NS_24const_host_device_scalarIT2_EEPKiS6_PKS3_iiS8_S4_PS3_21rocsparse_index_base_b,"axG",@progbits,_ZN9rocsparseL22gebsrmvn_mxn_16_kernelILj44ELj11ELj2EfEEvi20rocsparse_direction_NS_24const_host_device_scalarIT2_EEPKiS6_PKS3_iiS8_S4_PS3_21rocsparse_index_base_b,comdat
	.globl	_ZN9rocsparseL22gebsrmvn_mxn_16_kernelILj44ELj11ELj2EfEEvi20rocsparse_direction_NS_24const_host_device_scalarIT2_EEPKiS6_PKS3_iiS8_S4_PS3_21rocsparse_index_base_b ; -- Begin function _ZN9rocsparseL22gebsrmvn_mxn_16_kernelILj44ELj11ELj2EfEEvi20rocsparse_direction_NS_24const_host_device_scalarIT2_EEPKiS6_PKS3_iiS8_S4_PS3_21rocsparse_index_base_b
	.p2align	8
	.type	_ZN9rocsparseL22gebsrmvn_mxn_16_kernelILj44ELj11ELj2EfEEvi20rocsparse_direction_NS_24const_host_device_scalarIT2_EEPKiS6_PKS3_iiS8_S4_PS3_21rocsparse_index_base_b,@function
_ZN9rocsparseL22gebsrmvn_mxn_16_kernelILj44ELj11ELj2EfEEvi20rocsparse_direction_NS_24const_host_device_scalarIT2_EEPKiS6_PKS3_iiS8_S4_PS3_21rocsparse_index_base_b: ; @_ZN9rocsparseL22gebsrmvn_mxn_16_kernelILj44ELj11ELj2EfEEvi20rocsparse_direction_NS_24const_host_device_scalarIT2_EEPKiS6_PKS3_iiS8_S4_PS3_21rocsparse_index_base_b
; %bb.0:
	s_load_dwordx2 s[14:15], s[4:5], 0x48
	s_load_dwordx2 s[10:11], s[4:5], 0x8
	;; [unrolled: 1-line block ×3, first 2 shown]
	s_waitcnt lgkmcnt(0)
	s_bitcmp1_b32 s15, 0
	s_cselect_b64 s[2:3], -1, 0
	s_xor_b64 s[0:1], s[2:3], -1
	s_and_b64 vcc, exec, s[2:3]
	s_cbranch_vccnz .LBB19_2
; %bb.1:
	s_load_dword s10, s[10:11], 0x0
.LBB19_2:
	s_andn2_b64 vcc, exec, s[0:1]
	s_cbranch_vccnz .LBB19_4
; %bb.3:
	s_load_dword s8, s[8:9], 0x0
.LBB19_4:
	s_waitcnt lgkmcnt(0)
	v_cmp_eq_f32_e64 s[0:1], s10, 0
	v_cmp_eq_f32_e64 s[2:3], s8, 1.0
	s_and_b64 s[0:1], s[0:1], s[2:3]
	s_and_b64 vcc, exec, s[0:1]
	s_cbranch_vccnz .LBB19_30
; %bb.5:
	s_load_dword s2, s[4:5], 0x4
	s_load_dwordx2 s[0:1], s[4:5], 0x10
	v_and_b32_e32 v6, 1, v0
	v_mov_b32_e32 v7, v6
	s_waitcnt lgkmcnt(0)
	s_cmp_lg_u32 s2, 1
	s_cselect_b64 s[16:17], -1, 0
	s_and_b64 vcc, exec, s[16:17]
	s_cbranch_vccnz .LBB19_7
; %bb.6:
	v_mul_u32_u24_e32 v1, 0x1746, v0
	v_bfe_u32 v7, v1, 16, 1
.LBB19_7:
	s_ashr_i32 s7, s6, 31
	s_lshl_b64 s[2:3], s[6:7], 2
	s_add_u32 s0, s0, s2
	s_addc_u32 s1, s1, s3
	s_load_dwordx2 s[20:21], s[0:1], 0x0
	s_load_dwordx2 s[12:13], s[4:5], 0x40
	v_mov_b32_e32 v5, 0
	s_waitcnt lgkmcnt(0)
	s_cmp_ge_i32 s20, s21
	s_cbranch_scc1 .LBB19_12
; %bb.8:
	s_load_dwordx4 s[0:3], s[4:5], 0x18
	s_load_dwordx2 s[18:19], s[4:5], 0x30
	v_mad_u64_u32 v[1:2], s[4:5], s20, 22, v[0:1]
	s_mul_i32 s4, s14, 22
	v_mov_b32_e32 v2, 0
	s_sub_i32 s7, s21, s14
	s_sub_i32 s9, s20, s14
	v_mul_u32_u24_e32 v8, 0xba3, v0
	v_subrev_u32_e32 v1, s4, v1
	v_mov_b32_e32 v5, v2
	s_branch .LBB19_10
.LBB19_9:                               ;   in Loop: Header=BB19_10 Depth=1
	s_or_b64 exec, exec, s[4:5]
	s_add_i32 s9, s9, 2
	s_cmp_ge_i32 s9, s7
	v_add_u32_e32 v1, 44, v1
	s_cbranch_scc1 .LBB19_12
.LBB19_10:                              ; =>This Inner Loop Header: Depth=1
	v_add_u32_sdwa v3, v8, s9 dst_sel:DWORD dst_unused:UNUSED_PAD src0_sel:WORD_1 src1_sel:DWORD
	v_cmp_gt_i32_e32 vcc, s7, v3
	s_and_saveexec_b64 s[4:5], vcc
	s_cbranch_execz .LBB19_9
; %bb.11:                               ;   in Loop: Header=BB19_10 Depth=1
	v_ashrrev_i32_e32 v4, 31, v3
	v_lshlrev_b64 v[3:4], 2, v[3:4]
	s_waitcnt lgkmcnt(0)
	v_mov_b32_e32 v9, s1
	v_add_co_u32_e32 v3, vcc, s0, v3
	v_addc_co_u32_e32 v4, vcc, v9, v4, vcc
	global_load_dword v9, v[3:4], off
	v_lshlrev_b64 v[3:4], 2, v[1:2]
	v_mov_b32_e32 v10, s3
	v_add_co_u32_e32 v3, vcc, s2, v3
	v_addc_co_u32_e32 v4, vcc, v10, v4, vcc
	global_load_dword v10, v[3:4], off
	v_mov_b32_e32 v11, s19
	s_waitcnt vmcnt(1)
	v_subrev_u32_e32 v3, s14, v9
	v_lshl_or_b32 v3, v3, 1, v7
	v_ashrrev_i32_e32 v4, 31, v3
	v_lshlrev_b64 v[3:4], 2, v[3:4]
	v_add_co_u32_e32 v3, vcc, s18, v3
	v_addc_co_u32_e32 v4, vcc, v11, v4, vcc
	global_load_dword v3, v[3:4], off
	s_waitcnt vmcnt(0)
	v_fmac_f32_e32 v5, v10, v3
	s_branch .LBB19_9
.LBB19_12:
	v_lshlrev_b32_e32 v1, 2, v0
	v_cmp_gt_u32_e32 vcc, 22, v0
	ds_write_b32 v1, v5
	s_waitcnt lgkmcnt(0)
	; wave barrier
	s_and_saveexec_b64 s[0:1], vcc
	s_cbranch_execz .LBB19_14
; %bb.13:
	ds_read2_b32 v[2:3], v1 offset1:22
	s_waitcnt lgkmcnt(0)
	v_add_f32_e32 v2, v3, v2
	ds_write_b32 v1, v2
.LBB19_14:
	s_or_b64 exec, exec, s[0:1]
	s_and_b64 vcc, exec, s[16:17]
	s_waitcnt lgkmcnt(0)
	; wave barrier
	s_cbranch_vccz .LBB19_20
; %bb.15:
	v_cmp_eq_u32_e32 vcc, 0, v6
	s_and_saveexec_b64 s[0:1], vcc
	s_cbranch_execz .LBB19_17
; %bb.16:
	ds_read2_b32 v[2:3], v1 offset1:1
	s_waitcnt lgkmcnt(0)
	v_add_f32_e32 v2, v3, v2
	ds_write_b32 v1, v2
.LBB19_17:
	s_or_b64 exec, exec, s[0:1]
	v_cmp_gt_u32_e32 vcc, 11, v0
	v_mov_b32_e32 v2, v5
	s_waitcnt lgkmcnt(0)
	; wave barrier
	s_and_saveexec_b64 s[0:1], vcc
; %bb.18:
	v_lshl_add_u32 v2, v0, 2, v1
	ds_read_b32 v2, v2
; %bb.19:
	s_or_b64 exec, exec, s[0:1]
	s_branch .LBB19_26
.LBB19_20:
                                        ; implicit-def: $vgpr2
	s_cbranch_execz .LBB19_26
; %bb.21:
	v_cmp_lt_u32_e32 vcc, 10, v0
	s_and_saveexec_b64 s[0:1], vcc
	s_xor_b64 s[0:1], exec, s[0:1]
	s_cbranch_execz .LBB19_23
; %bb.22:
	s_waitcnt lgkmcnt(0)
                                        ; implicit-def: $vgpr1
.LBB19_23:
	s_andn2_saveexec_b64 s[0:1], s[0:1]
	s_cbranch_execz .LBB19_25
; %bb.24:
	s_waitcnt lgkmcnt(0)
	ds_read2_b32 v[2:3], v1 offset1:11
	s_waitcnt lgkmcnt(0)
	v_add_f32_e32 v2, v3, v2
	ds_write_b32 v1, v2
	s_waitcnt lgkmcnt(0)
	ds_read_b32 v5, v1
.LBB19_25:
	s_or_b64 exec, exec, s[0:1]
	s_waitcnt lgkmcnt(0)
	v_mov_b32_e32 v2, v5
.LBB19_26:
	v_cmp_gt_u32_e32 vcc, 11, v0
	s_and_saveexec_b64 s[0:1], vcc
	s_cbranch_execz .LBB19_30
; %bb.27:
	v_cmp_eq_f32_e64 s[0:1], s8, 0
	s_and_b64 vcc, exec, s[0:1]
	s_waitcnt lgkmcnt(0)
	v_mul_f32_e32 v1, s10, v2
	s_cbranch_vccz .LBB19_31
; %bb.28:
	v_mad_u64_u32 v[2:3], s[0:1], s6, 11, v[0:1]
	v_mov_b32_e32 v3, 0
	v_mov_b32_e32 v4, s13
	v_lshlrev_b64 v[2:3], 2, v[2:3]
	v_add_co_u32_e32 v2, vcc, s12, v2
	v_addc_co_u32_e32 v3, vcc, v4, v3, vcc
	global_store_dword v[2:3], v1, off
	s_cbranch_execnz .LBB19_30
.LBB19_29:
	v_mad_u64_u32 v[2:3], s[0:1], s6, 11, v[0:1]
	v_mov_b32_e32 v3, 0
	v_mov_b32_e32 v0, s13
	v_lshlrev_b64 v[2:3], 2, v[2:3]
	v_add_co_u32_e32 v2, vcc, s12, v2
	v_addc_co_u32_e32 v3, vcc, v0, v3, vcc
	global_load_dword v0, v[2:3], off
	s_waitcnt vmcnt(0)
	v_fmac_f32_e32 v1, s8, v0
	global_store_dword v[2:3], v1, off
.LBB19_30:
	s_endpgm
.LBB19_31:
	s_branch .LBB19_29
	.section	.rodata,"a",@progbits
	.p2align	6, 0x0
	.amdhsa_kernel _ZN9rocsparseL22gebsrmvn_mxn_16_kernelILj44ELj11ELj2EfEEvi20rocsparse_direction_NS_24const_host_device_scalarIT2_EEPKiS6_PKS3_iiS8_S4_PS3_21rocsparse_index_base_b
		.amdhsa_group_segment_fixed_size 176
		.amdhsa_private_segment_fixed_size 0
		.amdhsa_kernarg_size 80
		.amdhsa_user_sgpr_count 6
		.amdhsa_user_sgpr_private_segment_buffer 1
		.amdhsa_user_sgpr_dispatch_ptr 0
		.amdhsa_user_sgpr_queue_ptr 0
		.amdhsa_user_sgpr_kernarg_segment_ptr 1
		.amdhsa_user_sgpr_dispatch_id 0
		.amdhsa_user_sgpr_flat_scratch_init 0
		.amdhsa_user_sgpr_private_segment_size 0
		.amdhsa_uses_dynamic_stack 0
		.amdhsa_system_sgpr_private_segment_wavefront_offset 0
		.amdhsa_system_sgpr_workgroup_id_x 1
		.amdhsa_system_sgpr_workgroup_id_y 0
		.amdhsa_system_sgpr_workgroup_id_z 0
		.amdhsa_system_sgpr_workgroup_info 0
		.amdhsa_system_vgpr_workitem_id 0
		.amdhsa_next_free_vgpr 12
		.amdhsa_next_free_sgpr 22
		.amdhsa_reserve_vcc 1
		.amdhsa_reserve_flat_scratch 0
		.amdhsa_float_round_mode_32 0
		.amdhsa_float_round_mode_16_64 0
		.amdhsa_float_denorm_mode_32 3
		.amdhsa_float_denorm_mode_16_64 3
		.amdhsa_dx10_clamp 1
		.amdhsa_ieee_mode 1
		.amdhsa_fp16_overflow 0
		.amdhsa_exception_fp_ieee_invalid_op 0
		.amdhsa_exception_fp_denorm_src 0
		.amdhsa_exception_fp_ieee_div_zero 0
		.amdhsa_exception_fp_ieee_overflow 0
		.amdhsa_exception_fp_ieee_underflow 0
		.amdhsa_exception_fp_ieee_inexact 0
		.amdhsa_exception_int_div_zero 0
	.end_amdhsa_kernel
	.section	.text._ZN9rocsparseL22gebsrmvn_mxn_16_kernelILj44ELj11ELj2EfEEvi20rocsparse_direction_NS_24const_host_device_scalarIT2_EEPKiS6_PKS3_iiS8_S4_PS3_21rocsparse_index_base_b,"axG",@progbits,_ZN9rocsparseL22gebsrmvn_mxn_16_kernelILj44ELj11ELj2EfEEvi20rocsparse_direction_NS_24const_host_device_scalarIT2_EEPKiS6_PKS3_iiS8_S4_PS3_21rocsparse_index_base_b,comdat
.Lfunc_end19:
	.size	_ZN9rocsparseL22gebsrmvn_mxn_16_kernelILj44ELj11ELj2EfEEvi20rocsparse_direction_NS_24const_host_device_scalarIT2_EEPKiS6_PKS3_iiS8_S4_PS3_21rocsparse_index_base_b, .Lfunc_end19-_ZN9rocsparseL22gebsrmvn_mxn_16_kernelILj44ELj11ELj2EfEEvi20rocsparse_direction_NS_24const_host_device_scalarIT2_EEPKiS6_PKS3_iiS8_S4_PS3_21rocsparse_index_base_b
                                        ; -- End function
	.set _ZN9rocsparseL22gebsrmvn_mxn_16_kernelILj44ELj11ELj2EfEEvi20rocsparse_direction_NS_24const_host_device_scalarIT2_EEPKiS6_PKS3_iiS8_S4_PS3_21rocsparse_index_base_b.num_vgpr, 12
	.set _ZN9rocsparseL22gebsrmvn_mxn_16_kernelILj44ELj11ELj2EfEEvi20rocsparse_direction_NS_24const_host_device_scalarIT2_EEPKiS6_PKS3_iiS8_S4_PS3_21rocsparse_index_base_b.num_agpr, 0
	.set _ZN9rocsparseL22gebsrmvn_mxn_16_kernelILj44ELj11ELj2EfEEvi20rocsparse_direction_NS_24const_host_device_scalarIT2_EEPKiS6_PKS3_iiS8_S4_PS3_21rocsparse_index_base_b.numbered_sgpr, 22
	.set _ZN9rocsparseL22gebsrmvn_mxn_16_kernelILj44ELj11ELj2EfEEvi20rocsparse_direction_NS_24const_host_device_scalarIT2_EEPKiS6_PKS3_iiS8_S4_PS3_21rocsparse_index_base_b.num_named_barrier, 0
	.set _ZN9rocsparseL22gebsrmvn_mxn_16_kernelILj44ELj11ELj2EfEEvi20rocsparse_direction_NS_24const_host_device_scalarIT2_EEPKiS6_PKS3_iiS8_S4_PS3_21rocsparse_index_base_b.private_seg_size, 0
	.set _ZN9rocsparseL22gebsrmvn_mxn_16_kernelILj44ELj11ELj2EfEEvi20rocsparse_direction_NS_24const_host_device_scalarIT2_EEPKiS6_PKS3_iiS8_S4_PS3_21rocsparse_index_base_b.uses_vcc, 1
	.set _ZN9rocsparseL22gebsrmvn_mxn_16_kernelILj44ELj11ELj2EfEEvi20rocsparse_direction_NS_24const_host_device_scalarIT2_EEPKiS6_PKS3_iiS8_S4_PS3_21rocsparse_index_base_b.uses_flat_scratch, 0
	.set _ZN9rocsparseL22gebsrmvn_mxn_16_kernelILj44ELj11ELj2EfEEvi20rocsparse_direction_NS_24const_host_device_scalarIT2_EEPKiS6_PKS3_iiS8_S4_PS3_21rocsparse_index_base_b.has_dyn_sized_stack, 0
	.set _ZN9rocsparseL22gebsrmvn_mxn_16_kernelILj44ELj11ELj2EfEEvi20rocsparse_direction_NS_24const_host_device_scalarIT2_EEPKiS6_PKS3_iiS8_S4_PS3_21rocsparse_index_base_b.has_recursion, 0
	.set _ZN9rocsparseL22gebsrmvn_mxn_16_kernelILj44ELj11ELj2EfEEvi20rocsparse_direction_NS_24const_host_device_scalarIT2_EEPKiS6_PKS3_iiS8_S4_PS3_21rocsparse_index_base_b.has_indirect_call, 0
	.section	.AMDGPU.csdata,"",@progbits
; Kernel info:
; codeLenInByte = 812
; TotalNumSgprs: 26
; NumVgprs: 12
; ScratchSize: 0
; MemoryBound: 0
; FloatMode: 240
; IeeeMode: 1
; LDSByteSize: 176 bytes/workgroup (compile time only)
; SGPRBlocks: 3
; VGPRBlocks: 2
; NumSGPRsForWavesPerEU: 26
; NumVGPRsForWavesPerEU: 12
; Occupancy: 10
; WaveLimiterHint : 1
; COMPUTE_PGM_RSRC2:SCRATCH_EN: 0
; COMPUTE_PGM_RSRC2:USER_SGPR: 6
; COMPUTE_PGM_RSRC2:TRAP_HANDLER: 0
; COMPUTE_PGM_RSRC2:TGID_X_EN: 1
; COMPUTE_PGM_RSRC2:TGID_Y_EN: 0
; COMPUTE_PGM_RSRC2:TGID_Z_EN: 0
; COMPUTE_PGM_RSRC2:TIDIG_COMP_CNT: 0
	.section	.text._ZN9rocsparseL22gebsrmvn_mxn_16_kernelILj33ELj11ELj3EfEEvi20rocsparse_direction_NS_24const_host_device_scalarIT2_EEPKiS6_PKS3_iiS8_S4_PS3_21rocsparse_index_base_b,"axG",@progbits,_ZN9rocsparseL22gebsrmvn_mxn_16_kernelILj33ELj11ELj3EfEEvi20rocsparse_direction_NS_24const_host_device_scalarIT2_EEPKiS6_PKS3_iiS8_S4_PS3_21rocsparse_index_base_b,comdat
	.globl	_ZN9rocsparseL22gebsrmvn_mxn_16_kernelILj33ELj11ELj3EfEEvi20rocsparse_direction_NS_24const_host_device_scalarIT2_EEPKiS6_PKS3_iiS8_S4_PS3_21rocsparse_index_base_b ; -- Begin function _ZN9rocsparseL22gebsrmvn_mxn_16_kernelILj33ELj11ELj3EfEEvi20rocsparse_direction_NS_24const_host_device_scalarIT2_EEPKiS6_PKS3_iiS8_S4_PS3_21rocsparse_index_base_b
	.p2align	8
	.type	_ZN9rocsparseL22gebsrmvn_mxn_16_kernelILj33ELj11ELj3EfEEvi20rocsparse_direction_NS_24const_host_device_scalarIT2_EEPKiS6_PKS3_iiS8_S4_PS3_21rocsparse_index_base_b,@function
_ZN9rocsparseL22gebsrmvn_mxn_16_kernelILj33ELj11ELj3EfEEvi20rocsparse_direction_NS_24const_host_device_scalarIT2_EEPKiS6_PKS3_iiS8_S4_PS3_21rocsparse_index_base_b: ; @_ZN9rocsparseL22gebsrmvn_mxn_16_kernelILj33ELj11ELj3EfEEvi20rocsparse_direction_NS_24const_host_device_scalarIT2_EEPKiS6_PKS3_iiS8_S4_PS3_21rocsparse_index_base_b
; %bb.0:
	s_load_dwordx2 s[14:15], s[4:5], 0x48
	s_load_dwordx2 s[10:11], s[4:5], 0x8
	;; [unrolled: 1-line block ×3, first 2 shown]
	s_waitcnt lgkmcnt(0)
	s_bitcmp1_b32 s15, 0
	s_cselect_b64 s[2:3], -1, 0
	s_xor_b64 s[0:1], s[2:3], -1
	s_and_b64 vcc, exec, s[2:3]
	s_cbranch_vccnz .LBB20_2
; %bb.1:
	s_load_dword s10, s[10:11], 0x0
.LBB20_2:
	s_andn2_b64 vcc, exec, s[0:1]
	s_cbranch_vccnz .LBB20_4
; %bb.3:
	s_load_dword s8, s[8:9], 0x0
.LBB20_4:
	s_waitcnt lgkmcnt(0)
	v_cmp_eq_f32_e64 s[0:1], s10, 0
	v_cmp_eq_f32_e64 s[2:3], s8, 1.0
	s_and_b64 s[0:1], s[0:1], s[2:3]
	s_and_b64 vcc, exec, s[0:1]
	s_cbranch_vccnz .LBB20_32
; %bb.5:
	s_load_dwordx2 s[0:1], s[4:5], 0x10
	s_load_dword s2, s[4:5], 0x4
	v_mul_u32_u24_e32 v1, 0x5556, v0
	v_mov_b32_e32 v2, 3
	v_mul_lo_u16_sdwa v1, v1, v2 dst_sel:DWORD dst_unused:UNUSED_PAD src0_sel:WORD_1 src1_sel:DWORD
	v_sub_u16_e32 v7, v0, v1
	s_waitcnt lgkmcnt(0)
	s_cmp_lg_u32 s2, 1
	s_cselect_b64 s[16:17], -1, 0
	s_and_b64 vcc, exec, s[16:17]
	v_mov_b32_e32 v1, v7
	s_cbranch_vccnz .LBB20_7
; %bb.6:
	s_movk_i32 s2, 0x1746
	v_mul_u32_u24_sdwa v1, v0, s2 dst_sel:DWORD dst_unused:UNUSED_PAD src0_sel:WORD_0 src1_sel:DWORD
	s_movk_i32 s2, 0x56
	v_mul_lo_u16_sdwa v3, v1, s2 dst_sel:DWORD dst_unused:UNUSED_PAD src0_sel:WORD_1 src1_sel:DWORD
	v_mul_lo_u16_sdwa v2, v3, v2 dst_sel:DWORD dst_unused:UNUSED_PAD src0_sel:BYTE_1 src1_sel:DWORD
	v_sub_u16_sdwa v1, v1, v2 dst_sel:DWORD dst_unused:UNUSED_PAD src0_sel:WORD_1 src1_sel:DWORD
	v_and_b32_e32 v1, 0xff, v1
.LBB20_7:
	s_ashr_i32 s7, s6, 31
	s_lshl_b64 s[2:3], s[6:7], 2
	s_add_u32 s0, s0, s2
	s_addc_u32 s1, s1, s3
	s_load_dwordx2 s[20:21], s[0:1], 0x0
	s_load_dwordx2 s[12:13], s[4:5], 0x40
	v_mov_b32_e32 v6, 0
	s_waitcnt lgkmcnt(0)
	s_cmp_ge_i32 s20, s21
	s_cbranch_scc1 .LBB20_12
; %bb.8:
	s_load_dwordx4 s[0:3], s[4:5], 0x18
	s_load_dwordx2 s[18:19], s[4:5], 0x30
	v_mad_u64_u32 v[2:3], s[4:5], s20, 33, v[0:1]
	s_movk_i32 s4, 0x7c2
	v_mul_u32_u24_sdwa v8, v0, s4 dst_sel:DWORD dst_unused:UNUSED_PAD src0_sel:WORD_0 src1_sel:DWORD
	s_mul_i32 s4, s14, 33
	v_mov_b32_e32 v3, 0
	s_sub_i32 s7, s21, s14
	s_sub_i32 s9, s20, s14
	v_subrev_u32_e32 v2, s4, v2
	v_mov_b32_e32 v6, v3
	s_branch .LBB20_10
.LBB20_9:                               ;   in Loop: Header=BB20_10 Depth=1
	s_or_b64 exec, exec, s[4:5]
	s_add_i32 s9, s9, 1
	s_cmp_ge_i32 s9, s7
	v_add_u32_e32 v2, 33, v2
	s_cbranch_scc1 .LBB20_12
.LBB20_10:                              ; =>This Inner Loop Header: Depth=1
	v_add_u32_sdwa v4, v8, s9 dst_sel:DWORD dst_unused:UNUSED_PAD src0_sel:WORD_1 src1_sel:DWORD
	v_cmp_gt_i32_e32 vcc, s7, v4
	s_and_saveexec_b64 s[4:5], vcc
	s_cbranch_execz .LBB20_9
; %bb.11:                               ;   in Loop: Header=BB20_10 Depth=1
	v_ashrrev_i32_e32 v5, 31, v4
	v_lshlrev_b64 v[4:5], 2, v[4:5]
	s_waitcnt lgkmcnt(0)
	v_mov_b32_e32 v9, s1
	v_add_co_u32_e32 v4, vcc, s0, v4
	v_addc_co_u32_e32 v5, vcc, v9, v5, vcc
	global_load_dword v9, v[4:5], off
	v_lshlrev_b64 v[4:5], 2, v[2:3]
	v_mov_b32_e32 v11, s3
	v_add_co_u32_e32 v4, vcc, s2, v4
	v_addc_co_u32_e32 v5, vcc, v11, v5, vcc
	global_load_dword v11, v[4:5], off
	v_mov_b32_e32 v12, s19
	s_waitcnt vmcnt(1)
	v_subrev_u32_e32 v9, s14, v9
	v_mad_u64_u32 v[9:10], s[20:21], v9, 3, v[1:2]
	v_ashrrev_i32_e32 v10, 31, v9
	v_lshlrev_b64 v[4:5], 2, v[9:10]
	v_add_co_u32_e32 v4, vcc, s18, v4
	v_addc_co_u32_e32 v5, vcc, v12, v5, vcc
	global_load_dword v4, v[4:5], off
	s_waitcnt vmcnt(0)
	v_fmac_f32_e32 v6, v11, v4
	s_branch .LBB20_9
.LBB20_12:
	v_lshlrev_b32_e32 v1, 2, v0
	s_and_b64 vcc, exec, s[16:17]
	ds_write_b32 v1, v6
	s_waitcnt lgkmcnt(0)
	; wave barrier
	s_cbranch_vccz .LBB20_20
; %bb.13:
	v_cmp_eq_u16_e32 vcc, 0, v7
	s_and_saveexec_b64 s[0:1], vcc
	s_cbranch_execz .LBB20_15
; %bb.14:
	ds_read2_b32 v[2:3], v1 offset1:2
	s_waitcnt lgkmcnt(0)
	v_add_f32_e32 v2, v3, v2
	ds_write_b32 v1, v2
.LBB20_15:
	s_or_b64 exec, exec, s[0:1]
	s_waitcnt lgkmcnt(0)
	; wave barrier
	s_and_saveexec_b64 s[0:1], vcc
	s_cbranch_execz .LBB20_17
; %bb.16:
	ds_read2_b32 v[2:3], v1 offset1:1
	s_waitcnt lgkmcnt(0)
	v_add_f32_e32 v2, v3, v2
	ds_write_b32 v1, v2
.LBB20_17:
	s_or_b64 exec, exec, s[0:1]
	v_cmp_gt_u32_e32 vcc, 11, v0
	v_mov_b32_e32 v2, v6
	s_waitcnt lgkmcnt(0)
	; wave barrier
	s_and_saveexec_b64 s[0:1], vcc
; %bb.18:
	v_lshl_add_u32 v2, v0, 3, v1
	ds_read_b32 v2, v2
; %bb.19:
	s_or_b64 exec, exec, s[0:1]
	v_cmp_gt_u32_e64 s[0:1], 11, v0
	s_branch .LBB20_28
.LBB20_20:
                                        ; implicit-def: $vgpr2
	v_cmp_gt_u32_e64 s[0:1], 11, v0
	s_cbranch_execz .LBB20_28
; %bb.21:
	v_cmp_lt_u32_e32 vcc, 10, v0
	s_and_saveexec_b64 s[2:3], s[0:1]
	s_cbranch_execz .LBB20_23
; %bb.22:
	s_waitcnt lgkmcnt(0)
	ds_read2_b32 v[2:3], v1 offset1:22
	s_waitcnt lgkmcnt(0)
	v_add_f32_e32 v2, v3, v2
	ds_write_b32 v1, v2
.LBB20_23:
	s_or_b64 exec, exec, s[2:3]
	s_waitcnt lgkmcnt(0)
	; wave barrier
	s_and_saveexec_b64 s[0:1], vcc
	s_xor_b64 s[0:1], exec, s[0:1]
; %bb.24:
                                        ; implicit-def: $vgpr1
; %bb.25:
	s_andn2_saveexec_b64 s[0:1], s[0:1]
	s_cbranch_execz .LBB20_27
; %bb.26:
	ds_read2_b32 v[2:3], v1 offset1:11
	s_waitcnt lgkmcnt(0)
	v_add_f32_e32 v2, v3, v2
	ds_write_b32 v1, v2
	s_waitcnt lgkmcnt(0)
	ds_read_b32 v6, v1
.LBB20_27:
	s_or_b64 exec, exec, s[0:1]
	s_waitcnt lgkmcnt(0)
	v_mov_b32_e32 v2, v6
.LBB20_28:
	v_cmp_gt_u32_e32 vcc, 11, v0
	s_and_saveexec_b64 s[0:1], vcc
	s_cbranch_execz .LBB20_32
; %bb.29:
	v_cmp_eq_f32_e64 s[0:1], s8, 0
	s_and_b64 vcc, exec, s[0:1]
	s_waitcnt lgkmcnt(0)
	v_mul_f32_e32 v1, s10, v2
	s_cbranch_vccz .LBB20_33
; %bb.30:
	v_mad_u64_u32 v[2:3], s[0:1], s6, 11, v[0:1]
	v_mov_b32_e32 v3, 0
	v_mov_b32_e32 v4, s13
	v_lshlrev_b64 v[2:3], 2, v[2:3]
	v_add_co_u32_e32 v2, vcc, s12, v2
	v_addc_co_u32_e32 v3, vcc, v4, v3, vcc
	global_store_dword v[2:3], v1, off
	s_cbranch_execnz .LBB20_32
.LBB20_31:
	v_mad_u64_u32 v[2:3], s[0:1], s6, 11, v[0:1]
	v_mov_b32_e32 v3, 0
	v_mov_b32_e32 v0, s13
	v_lshlrev_b64 v[2:3], 2, v[2:3]
	v_add_co_u32_e32 v2, vcc, s12, v2
	v_addc_co_u32_e32 v3, vcc, v0, v3, vcc
	global_load_dword v0, v[2:3], off
	s_waitcnt vmcnt(0)
	v_fmac_f32_e32 v1, s8, v0
	global_store_dword v[2:3], v1, off
.LBB20_32:
	s_endpgm
.LBB20_33:
	s_branch .LBB20_31
	.section	.rodata,"a",@progbits
	.p2align	6, 0x0
	.amdhsa_kernel _ZN9rocsparseL22gebsrmvn_mxn_16_kernelILj33ELj11ELj3EfEEvi20rocsparse_direction_NS_24const_host_device_scalarIT2_EEPKiS6_PKS3_iiS8_S4_PS3_21rocsparse_index_base_b
		.amdhsa_group_segment_fixed_size 132
		.amdhsa_private_segment_fixed_size 0
		.amdhsa_kernarg_size 80
		.amdhsa_user_sgpr_count 6
		.amdhsa_user_sgpr_private_segment_buffer 1
		.amdhsa_user_sgpr_dispatch_ptr 0
		.amdhsa_user_sgpr_queue_ptr 0
		.amdhsa_user_sgpr_kernarg_segment_ptr 1
		.amdhsa_user_sgpr_dispatch_id 0
		.amdhsa_user_sgpr_flat_scratch_init 0
		.amdhsa_user_sgpr_private_segment_size 0
		.amdhsa_uses_dynamic_stack 0
		.amdhsa_system_sgpr_private_segment_wavefront_offset 0
		.amdhsa_system_sgpr_workgroup_id_x 1
		.amdhsa_system_sgpr_workgroup_id_y 0
		.amdhsa_system_sgpr_workgroup_id_z 0
		.amdhsa_system_sgpr_workgroup_info 0
		.amdhsa_system_vgpr_workitem_id 0
		.amdhsa_next_free_vgpr 13
		.amdhsa_next_free_sgpr 22
		.amdhsa_reserve_vcc 1
		.amdhsa_reserve_flat_scratch 0
		.amdhsa_float_round_mode_32 0
		.amdhsa_float_round_mode_16_64 0
		.amdhsa_float_denorm_mode_32 3
		.amdhsa_float_denorm_mode_16_64 3
		.amdhsa_dx10_clamp 1
		.amdhsa_ieee_mode 1
		.amdhsa_fp16_overflow 0
		.amdhsa_exception_fp_ieee_invalid_op 0
		.amdhsa_exception_fp_denorm_src 0
		.amdhsa_exception_fp_ieee_div_zero 0
		.amdhsa_exception_fp_ieee_overflow 0
		.amdhsa_exception_fp_ieee_underflow 0
		.amdhsa_exception_fp_ieee_inexact 0
		.amdhsa_exception_int_div_zero 0
	.end_amdhsa_kernel
	.section	.text._ZN9rocsparseL22gebsrmvn_mxn_16_kernelILj33ELj11ELj3EfEEvi20rocsparse_direction_NS_24const_host_device_scalarIT2_EEPKiS6_PKS3_iiS8_S4_PS3_21rocsparse_index_base_b,"axG",@progbits,_ZN9rocsparseL22gebsrmvn_mxn_16_kernelILj33ELj11ELj3EfEEvi20rocsparse_direction_NS_24const_host_device_scalarIT2_EEPKiS6_PKS3_iiS8_S4_PS3_21rocsparse_index_base_b,comdat
.Lfunc_end20:
	.size	_ZN9rocsparseL22gebsrmvn_mxn_16_kernelILj33ELj11ELj3EfEEvi20rocsparse_direction_NS_24const_host_device_scalarIT2_EEPKiS6_PKS3_iiS8_S4_PS3_21rocsparse_index_base_b, .Lfunc_end20-_ZN9rocsparseL22gebsrmvn_mxn_16_kernelILj33ELj11ELj3EfEEvi20rocsparse_direction_NS_24const_host_device_scalarIT2_EEPKiS6_PKS3_iiS8_S4_PS3_21rocsparse_index_base_b
                                        ; -- End function
	.set _ZN9rocsparseL22gebsrmvn_mxn_16_kernelILj33ELj11ELj3EfEEvi20rocsparse_direction_NS_24const_host_device_scalarIT2_EEPKiS6_PKS3_iiS8_S4_PS3_21rocsparse_index_base_b.num_vgpr, 13
	.set _ZN9rocsparseL22gebsrmvn_mxn_16_kernelILj33ELj11ELj3EfEEvi20rocsparse_direction_NS_24const_host_device_scalarIT2_EEPKiS6_PKS3_iiS8_S4_PS3_21rocsparse_index_base_b.num_agpr, 0
	.set _ZN9rocsparseL22gebsrmvn_mxn_16_kernelILj33ELj11ELj3EfEEvi20rocsparse_direction_NS_24const_host_device_scalarIT2_EEPKiS6_PKS3_iiS8_S4_PS3_21rocsparse_index_base_b.numbered_sgpr, 22
	.set _ZN9rocsparseL22gebsrmvn_mxn_16_kernelILj33ELj11ELj3EfEEvi20rocsparse_direction_NS_24const_host_device_scalarIT2_EEPKiS6_PKS3_iiS8_S4_PS3_21rocsparse_index_base_b.num_named_barrier, 0
	.set _ZN9rocsparseL22gebsrmvn_mxn_16_kernelILj33ELj11ELj3EfEEvi20rocsparse_direction_NS_24const_host_device_scalarIT2_EEPKiS6_PKS3_iiS8_S4_PS3_21rocsparse_index_base_b.private_seg_size, 0
	.set _ZN9rocsparseL22gebsrmvn_mxn_16_kernelILj33ELj11ELj3EfEEvi20rocsparse_direction_NS_24const_host_device_scalarIT2_EEPKiS6_PKS3_iiS8_S4_PS3_21rocsparse_index_base_b.uses_vcc, 1
	.set _ZN9rocsparseL22gebsrmvn_mxn_16_kernelILj33ELj11ELj3EfEEvi20rocsparse_direction_NS_24const_host_device_scalarIT2_EEPKiS6_PKS3_iiS8_S4_PS3_21rocsparse_index_base_b.uses_flat_scratch, 0
	.set _ZN9rocsparseL22gebsrmvn_mxn_16_kernelILj33ELj11ELj3EfEEvi20rocsparse_direction_NS_24const_host_device_scalarIT2_EEPKiS6_PKS3_iiS8_S4_PS3_21rocsparse_index_base_b.has_dyn_sized_stack, 0
	.set _ZN9rocsparseL22gebsrmvn_mxn_16_kernelILj33ELj11ELj3EfEEvi20rocsparse_direction_NS_24const_host_device_scalarIT2_EEPKiS6_PKS3_iiS8_S4_PS3_21rocsparse_index_base_b.has_recursion, 0
	.set _ZN9rocsparseL22gebsrmvn_mxn_16_kernelILj33ELj11ELj3EfEEvi20rocsparse_direction_NS_24const_host_device_scalarIT2_EEPKiS6_PKS3_iiS8_S4_PS3_21rocsparse_index_base_b.has_indirect_call, 0
	.section	.AMDGPU.csdata,"",@progbits
; Kernel info:
; codeLenInByte = 912
; TotalNumSgprs: 26
; NumVgprs: 13
; ScratchSize: 0
; MemoryBound: 0
; FloatMode: 240
; IeeeMode: 1
; LDSByteSize: 132 bytes/workgroup (compile time only)
; SGPRBlocks: 3
; VGPRBlocks: 3
; NumSGPRsForWavesPerEU: 26
; NumVGPRsForWavesPerEU: 13
; Occupancy: 10
; WaveLimiterHint : 1
; COMPUTE_PGM_RSRC2:SCRATCH_EN: 0
; COMPUTE_PGM_RSRC2:USER_SGPR: 6
; COMPUTE_PGM_RSRC2:TRAP_HANDLER: 0
; COMPUTE_PGM_RSRC2:TGID_X_EN: 1
; COMPUTE_PGM_RSRC2:TGID_Y_EN: 0
; COMPUTE_PGM_RSRC2:TGID_Z_EN: 0
; COMPUTE_PGM_RSRC2:TIDIG_COMP_CNT: 0
	.section	.text._ZN9rocsparseL22gebsrmvn_mxn_16_kernelILj44ELj11ELj4EfEEvi20rocsparse_direction_NS_24const_host_device_scalarIT2_EEPKiS6_PKS3_iiS8_S4_PS3_21rocsparse_index_base_b,"axG",@progbits,_ZN9rocsparseL22gebsrmvn_mxn_16_kernelILj44ELj11ELj4EfEEvi20rocsparse_direction_NS_24const_host_device_scalarIT2_EEPKiS6_PKS3_iiS8_S4_PS3_21rocsparse_index_base_b,comdat
	.globl	_ZN9rocsparseL22gebsrmvn_mxn_16_kernelILj44ELj11ELj4EfEEvi20rocsparse_direction_NS_24const_host_device_scalarIT2_EEPKiS6_PKS3_iiS8_S4_PS3_21rocsparse_index_base_b ; -- Begin function _ZN9rocsparseL22gebsrmvn_mxn_16_kernelILj44ELj11ELj4EfEEvi20rocsparse_direction_NS_24const_host_device_scalarIT2_EEPKiS6_PKS3_iiS8_S4_PS3_21rocsparse_index_base_b
	.p2align	8
	.type	_ZN9rocsparseL22gebsrmvn_mxn_16_kernelILj44ELj11ELj4EfEEvi20rocsparse_direction_NS_24const_host_device_scalarIT2_EEPKiS6_PKS3_iiS8_S4_PS3_21rocsparse_index_base_b,@function
_ZN9rocsparseL22gebsrmvn_mxn_16_kernelILj44ELj11ELj4EfEEvi20rocsparse_direction_NS_24const_host_device_scalarIT2_EEPKiS6_PKS3_iiS8_S4_PS3_21rocsparse_index_base_b: ; @_ZN9rocsparseL22gebsrmvn_mxn_16_kernelILj44ELj11ELj4EfEEvi20rocsparse_direction_NS_24const_host_device_scalarIT2_EEPKiS6_PKS3_iiS8_S4_PS3_21rocsparse_index_base_b
; %bb.0:
	s_load_dwordx2 s[14:15], s[4:5], 0x48
	s_load_dwordx2 s[10:11], s[4:5], 0x8
	;; [unrolled: 1-line block ×3, first 2 shown]
	s_waitcnt lgkmcnt(0)
	s_bitcmp1_b32 s15, 0
	s_cselect_b64 s[2:3], -1, 0
	s_xor_b64 s[0:1], s[2:3], -1
	s_and_b64 vcc, exec, s[2:3]
	s_cbranch_vccnz .LBB21_2
; %bb.1:
	s_load_dword s10, s[10:11], 0x0
.LBB21_2:
	s_andn2_b64 vcc, exec, s[0:1]
	s_cbranch_vccnz .LBB21_4
; %bb.3:
	s_load_dword s8, s[8:9], 0x0
.LBB21_4:
	s_waitcnt lgkmcnt(0)
	v_cmp_eq_f32_e64 s[0:1], s10, 0
	v_cmp_eq_f32_e64 s[2:3], s8, 1.0
	s_and_b64 s[0:1], s[0:1], s[2:3]
	s_and_b64 vcc, exec, s[0:1]
	s_cbranch_vccnz .LBB21_32
; %bb.5:
	s_load_dword s2, s[4:5], 0x4
	s_load_dwordx2 s[0:1], s[4:5], 0x10
	v_and_b32_e32 v6, 3, v0
	v_mov_b32_e32 v7, v6
	s_waitcnt lgkmcnt(0)
	s_cmp_lg_u32 s2, 1
	s_cselect_b64 s[16:17], -1, 0
	s_and_b64 vcc, exec, s[16:17]
	s_cbranch_vccnz .LBB21_7
; %bb.6:
	v_mul_u32_u24_e32 v1, 0x1746, v0
	v_bfe_u32 v7, v1, 16, 2
.LBB21_7:
	s_ashr_i32 s7, s6, 31
	s_lshl_b64 s[2:3], s[6:7], 2
	s_add_u32 s0, s0, s2
	s_addc_u32 s1, s1, s3
	s_load_dwordx2 s[20:21], s[0:1], 0x0
	s_load_dwordx2 s[12:13], s[4:5], 0x40
	v_mov_b32_e32 v5, 0
	s_waitcnt lgkmcnt(0)
	s_cmp_ge_i32 s20, s21
	s_cbranch_scc1 .LBB21_12
; %bb.8:
	s_load_dwordx4 s[0:3], s[4:5], 0x18
	s_load_dwordx2 s[18:19], s[4:5], 0x30
	v_mad_u64_u32 v[1:2], s[4:5], s20, 44, v[0:1]
	s_mul_i32 s4, s14, 44
	v_mov_b32_e32 v2, 0
	s_sub_i32 s7, s21, s14
	s_sub_i32 s9, s20, s14
	v_mul_u32_u24_e32 v8, 0x5d2, v0
	v_subrev_u32_e32 v1, s4, v1
	v_mov_b32_e32 v5, v2
	s_branch .LBB21_10
.LBB21_9:                               ;   in Loop: Header=BB21_10 Depth=1
	s_or_b64 exec, exec, s[4:5]
	s_add_i32 s9, s9, 1
	s_cmp_ge_i32 s9, s7
	v_add_u32_e32 v1, 44, v1
	s_cbranch_scc1 .LBB21_12
.LBB21_10:                              ; =>This Inner Loop Header: Depth=1
	v_add_u32_sdwa v3, v8, s9 dst_sel:DWORD dst_unused:UNUSED_PAD src0_sel:WORD_1 src1_sel:DWORD
	v_cmp_gt_i32_e32 vcc, s7, v3
	s_and_saveexec_b64 s[4:5], vcc
	s_cbranch_execz .LBB21_9
; %bb.11:                               ;   in Loop: Header=BB21_10 Depth=1
	v_ashrrev_i32_e32 v4, 31, v3
	v_lshlrev_b64 v[3:4], 2, v[3:4]
	s_waitcnt lgkmcnt(0)
	v_mov_b32_e32 v9, s1
	v_add_co_u32_e32 v3, vcc, s0, v3
	v_addc_co_u32_e32 v4, vcc, v9, v4, vcc
	global_load_dword v9, v[3:4], off
	v_lshlrev_b64 v[3:4], 2, v[1:2]
	v_mov_b32_e32 v10, s3
	v_add_co_u32_e32 v3, vcc, s2, v3
	v_addc_co_u32_e32 v4, vcc, v10, v4, vcc
	global_load_dword v10, v[3:4], off
	v_mov_b32_e32 v11, s19
	s_waitcnt vmcnt(1)
	v_subrev_u32_e32 v3, s14, v9
	v_lshl_or_b32 v3, v3, 2, v7
	v_ashrrev_i32_e32 v4, 31, v3
	v_lshlrev_b64 v[3:4], 2, v[3:4]
	v_add_co_u32_e32 v3, vcc, s18, v3
	v_addc_co_u32_e32 v4, vcc, v11, v4, vcc
	global_load_dword v3, v[3:4], off
	s_waitcnt vmcnt(0)
	v_fmac_f32_e32 v5, v10, v3
	s_branch .LBB21_9
.LBB21_12:
	v_lshlrev_b32_e32 v1, 2, v0
	s_and_b64 vcc, exec, s[16:17]
	ds_write_b32 v1, v5
	s_waitcnt lgkmcnt(0)
	; wave barrier
	s_cbranch_vccz .LBB21_20
; %bb.13:
	v_cmp_gt_u32_e32 vcc, 2, v6
	s_and_saveexec_b64 s[0:1], vcc
	s_cbranch_execz .LBB21_15
; %bb.14:
	ds_read2_b32 v[2:3], v1 offset1:2
	s_waitcnt lgkmcnt(0)
	v_add_f32_e32 v2, v3, v2
	ds_write_b32 v1, v2
.LBB21_15:
	s_or_b64 exec, exec, s[0:1]
	v_cmp_eq_u32_e32 vcc, 0, v6
	s_waitcnt lgkmcnt(0)
	; wave barrier
	s_and_saveexec_b64 s[0:1], vcc
	s_cbranch_execz .LBB21_17
; %bb.16:
	ds_read2_b32 v[2:3], v1 offset1:1
	s_waitcnt lgkmcnt(0)
	v_add_f32_e32 v2, v3, v2
	ds_write_b32 v1, v2
.LBB21_17:
	s_or_b64 exec, exec, s[0:1]
	v_cmp_gt_u32_e32 vcc, 11, v0
	v_mov_b32_e32 v2, v5
	s_waitcnt lgkmcnt(0)
	; wave barrier
	s_and_saveexec_b64 s[0:1], vcc
; %bb.18:
	v_mad_u32_u24 v2, v0, 12, v1
	ds_read_b32 v2, v2
; %bb.19:
	s_or_b64 exec, exec, s[0:1]
	s_branch .LBB21_28
.LBB21_20:
                                        ; implicit-def: $vgpr2
	s_cbranch_execz .LBB21_28
; %bb.21:
	v_cmp_gt_u32_e32 vcc, 22, v0
	s_and_saveexec_b64 s[0:1], vcc
	s_cbranch_execz .LBB21_23
; %bb.22:
	s_waitcnt lgkmcnt(0)
	ds_read2_b32 v[2:3], v1 offset1:22
	s_waitcnt lgkmcnt(0)
	v_add_f32_e32 v2, v3, v2
	ds_write_b32 v1, v2
.LBB21_23:
	s_or_b64 exec, exec, s[0:1]
	v_cmp_lt_u32_e32 vcc, 10, v0
	s_waitcnt lgkmcnt(0)
	s_and_saveexec_b64 s[0:1], vcc
	s_xor_b64 s[0:1], exec, s[0:1]
; %bb.24:
                                        ; implicit-def: $vgpr1
; %bb.25:
	s_andn2_saveexec_b64 s[0:1], s[0:1]
	s_cbranch_execz .LBB21_27
; %bb.26:
	ds_read2_b32 v[2:3], v1 offset1:11
	s_waitcnt lgkmcnt(0)
	v_add_f32_e32 v2, v3, v2
	ds_write_b32 v1, v2
	s_waitcnt lgkmcnt(0)
	ds_read_b32 v5, v1
.LBB21_27:
	s_or_b64 exec, exec, s[0:1]
	s_waitcnt lgkmcnt(0)
	v_mov_b32_e32 v2, v5
.LBB21_28:
	v_cmp_gt_u32_e32 vcc, 11, v0
	s_and_saveexec_b64 s[0:1], vcc
	s_cbranch_execz .LBB21_32
; %bb.29:
	v_cmp_eq_f32_e64 s[0:1], s8, 0
	s_and_b64 vcc, exec, s[0:1]
	s_waitcnt lgkmcnt(0)
	v_mul_f32_e32 v1, s10, v2
	s_cbranch_vccz .LBB21_33
; %bb.30:
	v_mad_u64_u32 v[2:3], s[0:1], s6, 11, v[0:1]
	v_mov_b32_e32 v3, 0
	v_mov_b32_e32 v4, s13
	v_lshlrev_b64 v[2:3], 2, v[2:3]
	v_add_co_u32_e32 v2, vcc, s12, v2
	v_addc_co_u32_e32 v3, vcc, v4, v3, vcc
	global_store_dword v[2:3], v1, off
	s_cbranch_execnz .LBB21_32
.LBB21_31:
	v_mad_u64_u32 v[2:3], s[0:1], s6, 11, v[0:1]
	v_mov_b32_e32 v3, 0
	v_mov_b32_e32 v0, s13
	v_lshlrev_b64 v[2:3], 2, v[2:3]
	v_add_co_u32_e32 v2, vcc, s12, v2
	v_addc_co_u32_e32 v3, vcc, v0, v3, vcc
	global_load_dword v0, v[2:3], off
	s_waitcnt vmcnt(0)
	v_fmac_f32_e32 v1, s8, v0
	global_store_dword v[2:3], v1, off
.LBB21_32:
	s_endpgm
.LBB21_33:
	s_branch .LBB21_31
	.section	.rodata,"a",@progbits
	.p2align	6, 0x0
	.amdhsa_kernel _ZN9rocsparseL22gebsrmvn_mxn_16_kernelILj44ELj11ELj4EfEEvi20rocsparse_direction_NS_24const_host_device_scalarIT2_EEPKiS6_PKS3_iiS8_S4_PS3_21rocsparse_index_base_b
		.amdhsa_group_segment_fixed_size 176
		.amdhsa_private_segment_fixed_size 0
		.amdhsa_kernarg_size 80
		.amdhsa_user_sgpr_count 6
		.amdhsa_user_sgpr_private_segment_buffer 1
		.amdhsa_user_sgpr_dispatch_ptr 0
		.amdhsa_user_sgpr_queue_ptr 0
		.amdhsa_user_sgpr_kernarg_segment_ptr 1
		.amdhsa_user_sgpr_dispatch_id 0
		.amdhsa_user_sgpr_flat_scratch_init 0
		.amdhsa_user_sgpr_private_segment_size 0
		.amdhsa_uses_dynamic_stack 0
		.amdhsa_system_sgpr_private_segment_wavefront_offset 0
		.amdhsa_system_sgpr_workgroup_id_x 1
		.amdhsa_system_sgpr_workgroup_id_y 0
		.amdhsa_system_sgpr_workgroup_id_z 0
		.amdhsa_system_sgpr_workgroup_info 0
		.amdhsa_system_vgpr_workitem_id 0
		.amdhsa_next_free_vgpr 12
		.amdhsa_next_free_sgpr 22
		.amdhsa_reserve_vcc 1
		.amdhsa_reserve_flat_scratch 0
		.amdhsa_float_round_mode_32 0
		.amdhsa_float_round_mode_16_64 0
		.amdhsa_float_denorm_mode_32 3
		.amdhsa_float_denorm_mode_16_64 3
		.amdhsa_dx10_clamp 1
		.amdhsa_ieee_mode 1
		.amdhsa_fp16_overflow 0
		.amdhsa_exception_fp_ieee_invalid_op 0
		.amdhsa_exception_fp_denorm_src 0
		.amdhsa_exception_fp_ieee_div_zero 0
		.amdhsa_exception_fp_ieee_overflow 0
		.amdhsa_exception_fp_ieee_underflow 0
		.amdhsa_exception_fp_ieee_inexact 0
		.amdhsa_exception_int_div_zero 0
	.end_amdhsa_kernel
	.section	.text._ZN9rocsparseL22gebsrmvn_mxn_16_kernelILj44ELj11ELj4EfEEvi20rocsparse_direction_NS_24const_host_device_scalarIT2_EEPKiS6_PKS3_iiS8_S4_PS3_21rocsparse_index_base_b,"axG",@progbits,_ZN9rocsparseL22gebsrmvn_mxn_16_kernelILj44ELj11ELj4EfEEvi20rocsparse_direction_NS_24const_host_device_scalarIT2_EEPKiS6_PKS3_iiS8_S4_PS3_21rocsparse_index_base_b,comdat
.Lfunc_end21:
	.size	_ZN9rocsparseL22gebsrmvn_mxn_16_kernelILj44ELj11ELj4EfEEvi20rocsparse_direction_NS_24const_host_device_scalarIT2_EEPKiS6_PKS3_iiS8_S4_PS3_21rocsparse_index_base_b, .Lfunc_end21-_ZN9rocsparseL22gebsrmvn_mxn_16_kernelILj44ELj11ELj4EfEEvi20rocsparse_direction_NS_24const_host_device_scalarIT2_EEPKiS6_PKS3_iiS8_S4_PS3_21rocsparse_index_base_b
                                        ; -- End function
	.set _ZN9rocsparseL22gebsrmvn_mxn_16_kernelILj44ELj11ELj4EfEEvi20rocsparse_direction_NS_24const_host_device_scalarIT2_EEPKiS6_PKS3_iiS8_S4_PS3_21rocsparse_index_base_b.num_vgpr, 12
	.set _ZN9rocsparseL22gebsrmvn_mxn_16_kernelILj44ELj11ELj4EfEEvi20rocsparse_direction_NS_24const_host_device_scalarIT2_EEPKiS6_PKS3_iiS8_S4_PS3_21rocsparse_index_base_b.num_agpr, 0
	.set _ZN9rocsparseL22gebsrmvn_mxn_16_kernelILj44ELj11ELj4EfEEvi20rocsparse_direction_NS_24const_host_device_scalarIT2_EEPKiS6_PKS3_iiS8_S4_PS3_21rocsparse_index_base_b.numbered_sgpr, 22
	.set _ZN9rocsparseL22gebsrmvn_mxn_16_kernelILj44ELj11ELj4EfEEvi20rocsparse_direction_NS_24const_host_device_scalarIT2_EEPKiS6_PKS3_iiS8_S4_PS3_21rocsparse_index_base_b.num_named_barrier, 0
	.set _ZN9rocsparseL22gebsrmvn_mxn_16_kernelILj44ELj11ELj4EfEEvi20rocsparse_direction_NS_24const_host_device_scalarIT2_EEPKiS6_PKS3_iiS8_S4_PS3_21rocsparse_index_base_b.private_seg_size, 0
	.set _ZN9rocsparseL22gebsrmvn_mxn_16_kernelILj44ELj11ELj4EfEEvi20rocsparse_direction_NS_24const_host_device_scalarIT2_EEPKiS6_PKS3_iiS8_S4_PS3_21rocsparse_index_base_b.uses_vcc, 1
	.set _ZN9rocsparseL22gebsrmvn_mxn_16_kernelILj44ELj11ELj4EfEEvi20rocsparse_direction_NS_24const_host_device_scalarIT2_EEPKiS6_PKS3_iiS8_S4_PS3_21rocsparse_index_base_b.uses_flat_scratch, 0
	.set _ZN9rocsparseL22gebsrmvn_mxn_16_kernelILj44ELj11ELj4EfEEvi20rocsparse_direction_NS_24const_host_device_scalarIT2_EEPKiS6_PKS3_iiS8_S4_PS3_21rocsparse_index_base_b.has_dyn_sized_stack, 0
	.set _ZN9rocsparseL22gebsrmvn_mxn_16_kernelILj44ELj11ELj4EfEEvi20rocsparse_direction_NS_24const_host_device_scalarIT2_EEPKiS6_PKS3_iiS8_S4_PS3_21rocsparse_index_base_b.has_recursion, 0
	.set _ZN9rocsparseL22gebsrmvn_mxn_16_kernelILj44ELj11ELj4EfEEvi20rocsparse_direction_NS_24const_host_device_scalarIT2_EEPKiS6_PKS3_iiS8_S4_PS3_21rocsparse_index_base_b.has_indirect_call, 0
	.section	.AMDGPU.csdata,"",@progbits
; Kernel info:
; codeLenInByte = 848
; TotalNumSgprs: 26
; NumVgprs: 12
; ScratchSize: 0
; MemoryBound: 0
; FloatMode: 240
; IeeeMode: 1
; LDSByteSize: 176 bytes/workgroup (compile time only)
; SGPRBlocks: 3
; VGPRBlocks: 2
; NumSGPRsForWavesPerEU: 26
; NumVGPRsForWavesPerEU: 12
; Occupancy: 10
; WaveLimiterHint : 1
; COMPUTE_PGM_RSRC2:SCRATCH_EN: 0
; COMPUTE_PGM_RSRC2:USER_SGPR: 6
; COMPUTE_PGM_RSRC2:TRAP_HANDLER: 0
; COMPUTE_PGM_RSRC2:TGID_X_EN: 1
; COMPUTE_PGM_RSRC2:TGID_Y_EN: 0
; COMPUTE_PGM_RSRC2:TGID_Z_EN: 0
; COMPUTE_PGM_RSRC2:TIDIG_COMP_CNT: 0
	.section	.text._ZN9rocsparseL22gebsrmvn_mxn_16_kernelILj55ELj11ELj5EfEEvi20rocsparse_direction_NS_24const_host_device_scalarIT2_EEPKiS6_PKS3_iiS8_S4_PS3_21rocsparse_index_base_b,"axG",@progbits,_ZN9rocsparseL22gebsrmvn_mxn_16_kernelILj55ELj11ELj5EfEEvi20rocsparse_direction_NS_24const_host_device_scalarIT2_EEPKiS6_PKS3_iiS8_S4_PS3_21rocsparse_index_base_b,comdat
	.globl	_ZN9rocsparseL22gebsrmvn_mxn_16_kernelILj55ELj11ELj5EfEEvi20rocsparse_direction_NS_24const_host_device_scalarIT2_EEPKiS6_PKS3_iiS8_S4_PS3_21rocsparse_index_base_b ; -- Begin function _ZN9rocsparseL22gebsrmvn_mxn_16_kernelILj55ELj11ELj5EfEEvi20rocsparse_direction_NS_24const_host_device_scalarIT2_EEPKiS6_PKS3_iiS8_S4_PS3_21rocsparse_index_base_b
	.p2align	8
	.type	_ZN9rocsparseL22gebsrmvn_mxn_16_kernelILj55ELj11ELj5EfEEvi20rocsparse_direction_NS_24const_host_device_scalarIT2_EEPKiS6_PKS3_iiS8_S4_PS3_21rocsparse_index_base_b,@function
_ZN9rocsparseL22gebsrmvn_mxn_16_kernelILj55ELj11ELj5EfEEvi20rocsparse_direction_NS_24const_host_device_scalarIT2_EEPKiS6_PKS3_iiS8_S4_PS3_21rocsparse_index_base_b: ; @_ZN9rocsparseL22gebsrmvn_mxn_16_kernelILj55ELj11ELj5EfEEvi20rocsparse_direction_NS_24const_host_device_scalarIT2_EEPKiS6_PKS3_iiS8_S4_PS3_21rocsparse_index_base_b
; %bb.0:
	s_load_dwordx2 s[14:15], s[4:5], 0x48
	s_load_dwordx2 s[10:11], s[4:5], 0x8
	;; [unrolled: 1-line block ×3, first 2 shown]
	s_waitcnt lgkmcnt(0)
	s_bitcmp1_b32 s15, 0
	s_cselect_b64 s[2:3], -1, 0
	s_xor_b64 s[0:1], s[2:3], -1
	s_and_b64 vcc, exec, s[2:3]
	s_cbranch_vccnz .LBB22_2
; %bb.1:
	s_load_dword s10, s[10:11], 0x0
.LBB22_2:
	s_andn2_b64 vcc, exec, s[0:1]
	s_cbranch_vccnz .LBB22_4
; %bb.3:
	s_load_dword s8, s[8:9], 0x0
.LBB22_4:
	s_waitcnt lgkmcnt(0)
	v_cmp_eq_f32_e64 s[0:1], s10, 0
	v_cmp_eq_f32_e64 s[2:3], s8, 1.0
	s_and_b64 s[0:1], s[0:1], s[2:3]
	s_and_b64 vcc, exec, s[0:1]
	s_cbranch_vccnz .LBB22_36
; %bb.5:
	s_load_dwordx2 s[0:1], s[4:5], 0x10
	s_load_dword s2, s[4:5], 0x4
	v_mul_u32_u24_e32 v1, 0x3334, v0
	v_mov_b32_e32 v2, 5
	v_mul_lo_u16_sdwa v1, v1, v2 dst_sel:DWORD dst_unused:UNUSED_PAD src0_sel:WORD_1 src1_sel:DWORD
	v_sub_u16_e32 v7, v0, v1
	s_waitcnt lgkmcnt(0)
	s_cmp_lg_u32 s2, 1
	s_cselect_b64 s[16:17], -1, 0
	s_and_b64 vcc, exec, s[16:17]
	v_mov_b32_e32 v1, v7
	s_cbranch_vccnz .LBB22_7
; %bb.6:
	s_movk_i32 s2, 0x1746
	v_mul_u32_u24_sdwa v1, v0, s2 dst_sel:DWORD dst_unused:UNUSED_PAD src0_sel:WORD_0 src1_sel:DWORD
	v_mov_b32_e32 v3, 52
	v_mul_lo_u16_sdwa v3, v1, v3 dst_sel:DWORD dst_unused:UNUSED_PAD src0_sel:WORD_1 src1_sel:DWORD
	v_mul_lo_u16_sdwa v2, v3, v2 dst_sel:DWORD dst_unused:UNUSED_PAD src0_sel:BYTE_1 src1_sel:DWORD
	v_sub_u16_sdwa v1, v1, v2 dst_sel:DWORD dst_unused:UNUSED_PAD src0_sel:WORD_1 src1_sel:DWORD
	v_and_b32_e32 v1, 0xff, v1
.LBB22_7:
	s_ashr_i32 s7, s6, 31
	s_lshl_b64 s[2:3], s[6:7], 2
	s_add_u32 s0, s0, s2
	s_addc_u32 s1, s1, s3
	s_load_dwordx2 s[20:21], s[0:1], 0x0
	s_load_dwordx2 s[12:13], s[4:5], 0x40
	v_mov_b32_e32 v6, 0
	s_waitcnt lgkmcnt(0)
	s_cmp_ge_i32 s20, s21
	s_cbranch_scc1 .LBB22_12
; %bb.8:
	s_load_dwordx4 s[0:3], s[4:5], 0x18
	s_load_dwordx2 s[18:19], s[4:5], 0x30
	v_mad_u64_u32 v[2:3], s[4:5], s20, 55, v[0:1]
	s_movk_i32 s4, 0x4a8
	v_mul_u32_u24_sdwa v8, v0, s4 dst_sel:DWORD dst_unused:UNUSED_PAD src0_sel:WORD_0 src1_sel:DWORD
	s_mul_i32 s4, s14, 55
	v_mov_b32_e32 v3, 0
	s_sub_i32 s7, s21, s14
	s_sub_i32 s9, s20, s14
	v_subrev_u32_e32 v2, s4, v2
	v_mov_b32_e32 v6, v3
	s_branch .LBB22_10
.LBB22_9:                               ;   in Loop: Header=BB22_10 Depth=1
	s_or_b64 exec, exec, s[4:5]
	s_add_i32 s9, s9, 1
	s_cmp_ge_i32 s9, s7
	v_add_u32_e32 v2, 55, v2
	s_cbranch_scc1 .LBB22_12
.LBB22_10:                              ; =>This Inner Loop Header: Depth=1
	v_add_u32_sdwa v4, v8, s9 dst_sel:DWORD dst_unused:UNUSED_PAD src0_sel:WORD_1 src1_sel:DWORD
	v_cmp_gt_i32_e32 vcc, s7, v4
	s_and_saveexec_b64 s[4:5], vcc
	s_cbranch_execz .LBB22_9
; %bb.11:                               ;   in Loop: Header=BB22_10 Depth=1
	v_ashrrev_i32_e32 v5, 31, v4
	v_lshlrev_b64 v[4:5], 2, v[4:5]
	s_waitcnt lgkmcnt(0)
	v_mov_b32_e32 v9, s1
	v_add_co_u32_e32 v4, vcc, s0, v4
	v_addc_co_u32_e32 v5, vcc, v9, v5, vcc
	global_load_dword v9, v[4:5], off
	v_lshlrev_b64 v[4:5], 2, v[2:3]
	v_mov_b32_e32 v11, s3
	v_add_co_u32_e32 v4, vcc, s2, v4
	v_addc_co_u32_e32 v5, vcc, v11, v5, vcc
	global_load_dword v11, v[4:5], off
	v_mov_b32_e32 v12, s19
	s_waitcnt vmcnt(1)
	v_subrev_u32_e32 v9, s14, v9
	v_mad_u64_u32 v[9:10], s[20:21], v9, 5, v[1:2]
	v_ashrrev_i32_e32 v10, 31, v9
	v_lshlrev_b64 v[4:5], 2, v[9:10]
	v_add_co_u32_e32 v4, vcc, s18, v4
	v_addc_co_u32_e32 v5, vcc, v12, v5, vcc
	global_load_dword v4, v[4:5], off
	s_waitcnt vmcnt(0)
	v_fmac_f32_e32 v6, v11, v4
	s_branch .LBB22_9
.LBB22_12:
	v_lshlrev_b32_e32 v1, 2, v0
	s_and_b64 vcc, exec, s[16:17]
	ds_write_b32 v1, v6
	s_waitcnt lgkmcnt(0)
	; wave barrier
	s_cbranch_vccz .LBB22_22
; %bb.13:
	v_cmp_eq_u16_e32 vcc, 0, v7
	s_and_saveexec_b64 s[0:1], vcc
	s_cbranch_execz .LBB22_15
; %bb.14:
	ds_read2_b32 v[2:3], v1 offset1:4
	s_waitcnt lgkmcnt(0)
	v_add_f32_e32 v2, v3, v2
	ds_write_b32 v1, v2
.LBB22_15:
	s_or_b64 exec, exec, s[0:1]
	v_cmp_gt_u16_e64 s[0:1], 2, v7
	s_waitcnt lgkmcnt(0)
	; wave barrier
	s_and_saveexec_b64 s[2:3], s[0:1]
	s_cbranch_execz .LBB22_17
; %bb.16:
	ds_read2_b32 v[2:3], v1 offset1:2
	s_waitcnt lgkmcnt(0)
	v_add_f32_e32 v2, v3, v2
	ds_write_b32 v1, v2
.LBB22_17:
	s_or_b64 exec, exec, s[2:3]
	s_waitcnt lgkmcnt(0)
	; wave barrier
	s_and_saveexec_b64 s[0:1], vcc
	s_cbranch_execz .LBB22_19
; %bb.18:
	ds_read2_b32 v[2:3], v1 offset1:1
	s_waitcnt lgkmcnt(0)
	v_add_f32_e32 v2, v3, v2
	ds_write_b32 v1, v2
.LBB22_19:
	s_or_b64 exec, exec, s[0:1]
	v_cmp_gt_u32_e32 vcc, 11, v0
	v_mov_b32_e32 v2, v6
	s_waitcnt lgkmcnt(0)
	; wave barrier
	s_and_saveexec_b64 s[0:1], vcc
; %bb.20:
	v_lshl_add_u32 v2, v0, 4, v1
	ds_read_b32 v2, v2
; %bb.21:
	s_or_b64 exec, exec, s[0:1]
	v_cmp_gt_u32_e64 s[0:1], 11, v0
	s_branch .LBB22_32
.LBB22_22:
                                        ; implicit-def: $vgpr2
	v_cmp_gt_u32_e64 s[0:1], 11, v0
	s_cbranch_execz .LBB22_32
; %bb.23:
	v_cmp_lt_u32_e32 vcc, 10, v0
	s_and_saveexec_b64 s[2:3], s[0:1]
	s_cbranch_execz .LBB22_25
; %bb.24:
	s_waitcnt lgkmcnt(0)
	ds_read2_b32 v[2:3], v1 offset1:44
	s_waitcnt lgkmcnt(0)
	v_add_f32_e32 v2, v3, v2
	ds_write_b32 v1, v2
.LBB22_25:
	s_or_b64 exec, exec, s[2:3]
	v_cmp_gt_u32_e64 s[0:1], 22, v0
	s_waitcnt lgkmcnt(0)
	; wave barrier
	s_and_saveexec_b64 s[2:3], s[0:1]
	s_cbranch_execz .LBB22_27
; %bb.26:
	ds_read2_b32 v[2:3], v1 offset1:22
	s_waitcnt lgkmcnt(0)
	v_add_f32_e32 v2, v3, v2
	ds_write_b32 v1, v2
.LBB22_27:
	s_or_b64 exec, exec, s[2:3]
	s_waitcnt lgkmcnt(0)
	s_and_saveexec_b64 s[0:1], vcc
	s_xor_b64 s[0:1], exec, s[0:1]
; %bb.28:
                                        ; implicit-def: $vgpr1
; %bb.29:
	s_andn2_saveexec_b64 s[0:1], s[0:1]
	s_cbranch_execz .LBB22_31
; %bb.30:
	ds_read2_b32 v[2:3], v1 offset1:11
	s_waitcnt lgkmcnt(0)
	v_add_f32_e32 v2, v3, v2
	ds_write_b32 v1, v2
	s_waitcnt lgkmcnt(0)
	ds_read_b32 v6, v1
.LBB22_31:
	s_or_b64 exec, exec, s[0:1]
	s_waitcnt lgkmcnt(0)
	v_mov_b32_e32 v2, v6
.LBB22_32:
	v_cmp_gt_u32_e32 vcc, 11, v0
	s_and_saveexec_b64 s[0:1], vcc
	s_cbranch_execz .LBB22_36
; %bb.33:
	v_cmp_eq_f32_e64 s[0:1], s8, 0
	s_and_b64 vcc, exec, s[0:1]
	s_waitcnt lgkmcnt(0)
	v_mul_f32_e32 v1, s10, v2
	s_cbranch_vccz .LBB22_37
; %bb.34:
	v_mad_u64_u32 v[2:3], s[0:1], s6, 11, v[0:1]
	v_mov_b32_e32 v3, 0
	v_mov_b32_e32 v4, s13
	v_lshlrev_b64 v[2:3], 2, v[2:3]
	v_add_co_u32_e32 v2, vcc, s12, v2
	v_addc_co_u32_e32 v3, vcc, v4, v3, vcc
	global_store_dword v[2:3], v1, off
	s_cbranch_execnz .LBB22_36
.LBB22_35:
	v_mad_u64_u32 v[2:3], s[0:1], s6, 11, v[0:1]
	v_mov_b32_e32 v3, 0
	v_mov_b32_e32 v0, s13
	v_lshlrev_b64 v[2:3], 2, v[2:3]
	v_add_co_u32_e32 v2, vcc, s12, v2
	v_addc_co_u32_e32 v3, vcc, v0, v3, vcc
	global_load_dword v0, v[2:3], off
	s_waitcnt vmcnt(0)
	v_fmac_f32_e32 v1, s8, v0
	global_store_dword v[2:3], v1, off
.LBB22_36:
	s_endpgm
.LBB22_37:
	s_branch .LBB22_35
	.section	.rodata,"a",@progbits
	.p2align	6, 0x0
	.amdhsa_kernel _ZN9rocsparseL22gebsrmvn_mxn_16_kernelILj55ELj11ELj5EfEEvi20rocsparse_direction_NS_24const_host_device_scalarIT2_EEPKiS6_PKS3_iiS8_S4_PS3_21rocsparse_index_base_b
		.amdhsa_group_segment_fixed_size 220
		.amdhsa_private_segment_fixed_size 0
		.amdhsa_kernarg_size 80
		.amdhsa_user_sgpr_count 6
		.amdhsa_user_sgpr_private_segment_buffer 1
		.amdhsa_user_sgpr_dispatch_ptr 0
		.amdhsa_user_sgpr_queue_ptr 0
		.amdhsa_user_sgpr_kernarg_segment_ptr 1
		.amdhsa_user_sgpr_dispatch_id 0
		.amdhsa_user_sgpr_flat_scratch_init 0
		.amdhsa_user_sgpr_private_segment_size 0
		.amdhsa_uses_dynamic_stack 0
		.amdhsa_system_sgpr_private_segment_wavefront_offset 0
		.amdhsa_system_sgpr_workgroup_id_x 1
		.amdhsa_system_sgpr_workgroup_id_y 0
		.amdhsa_system_sgpr_workgroup_id_z 0
		.amdhsa_system_sgpr_workgroup_info 0
		.amdhsa_system_vgpr_workitem_id 0
		.amdhsa_next_free_vgpr 13
		.amdhsa_next_free_sgpr 22
		.amdhsa_reserve_vcc 1
		.amdhsa_reserve_flat_scratch 0
		.amdhsa_float_round_mode_32 0
		.amdhsa_float_round_mode_16_64 0
		.amdhsa_float_denorm_mode_32 3
		.amdhsa_float_denorm_mode_16_64 3
		.amdhsa_dx10_clamp 1
		.amdhsa_ieee_mode 1
		.amdhsa_fp16_overflow 0
		.amdhsa_exception_fp_ieee_invalid_op 0
		.amdhsa_exception_fp_denorm_src 0
		.amdhsa_exception_fp_ieee_div_zero 0
		.amdhsa_exception_fp_ieee_overflow 0
		.amdhsa_exception_fp_ieee_underflow 0
		.amdhsa_exception_fp_ieee_inexact 0
		.amdhsa_exception_int_div_zero 0
	.end_amdhsa_kernel
	.section	.text._ZN9rocsparseL22gebsrmvn_mxn_16_kernelILj55ELj11ELj5EfEEvi20rocsparse_direction_NS_24const_host_device_scalarIT2_EEPKiS6_PKS3_iiS8_S4_PS3_21rocsparse_index_base_b,"axG",@progbits,_ZN9rocsparseL22gebsrmvn_mxn_16_kernelILj55ELj11ELj5EfEEvi20rocsparse_direction_NS_24const_host_device_scalarIT2_EEPKiS6_PKS3_iiS8_S4_PS3_21rocsparse_index_base_b,comdat
.Lfunc_end22:
	.size	_ZN9rocsparseL22gebsrmvn_mxn_16_kernelILj55ELj11ELj5EfEEvi20rocsparse_direction_NS_24const_host_device_scalarIT2_EEPKiS6_PKS3_iiS8_S4_PS3_21rocsparse_index_base_b, .Lfunc_end22-_ZN9rocsparseL22gebsrmvn_mxn_16_kernelILj55ELj11ELj5EfEEvi20rocsparse_direction_NS_24const_host_device_scalarIT2_EEPKiS6_PKS3_iiS8_S4_PS3_21rocsparse_index_base_b
                                        ; -- End function
	.set _ZN9rocsparseL22gebsrmvn_mxn_16_kernelILj55ELj11ELj5EfEEvi20rocsparse_direction_NS_24const_host_device_scalarIT2_EEPKiS6_PKS3_iiS8_S4_PS3_21rocsparse_index_base_b.num_vgpr, 13
	.set _ZN9rocsparseL22gebsrmvn_mxn_16_kernelILj55ELj11ELj5EfEEvi20rocsparse_direction_NS_24const_host_device_scalarIT2_EEPKiS6_PKS3_iiS8_S4_PS3_21rocsparse_index_base_b.num_agpr, 0
	.set _ZN9rocsparseL22gebsrmvn_mxn_16_kernelILj55ELj11ELj5EfEEvi20rocsparse_direction_NS_24const_host_device_scalarIT2_EEPKiS6_PKS3_iiS8_S4_PS3_21rocsparse_index_base_b.numbered_sgpr, 22
	.set _ZN9rocsparseL22gebsrmvn_mxn_16_kernelILj55ELj11ELj5EfEEvi20rocsparse_direction_NS_24const_host_device_scalarIT2_EEPKiS6_PKS3_iiS8_S4_PS3_21rocsparse_index_base_b.num_named_barrier, 0
	.set _ZN9rocsparseL22gebsrmvn_mxn_16_kernelILj55ELj11ELj5EfEEvi20rocsparse_direction_NS_24const_host_device_scalarIT2_EEPKiS6_PKS3_iiS8_S4_PS3_21rocsparse_index_base_b.private_seg_size, 0
	.set _ZN9rocsparseL22gebsrmvn_mxn_16_kernelILj55ELj11ELj5EfEEvi20rocsparse_direction_NS_24const_host_device_scalarIT2_EEPKiS6_PKS3_iiS8_S4_PS3_21rocsparse_index_base_b.uses_vcc, 1
	.set _ZN9rocsparseL22gebsrmvn_mxn_16_kernelILj55ELj11ELj5EfEEvi20rocsparse_direction_NS_24const_host_device_scalarIT2_EEPKiS6_PKS3_iiS8_S4_PS3_21rocsparse_index_base_b.uses_flat_scratch, 0
	.set _ZN9rocsparseL22gebsrmvn_mxn_16_kernelILj55ELj11ELj5EfEEvi20rocsparse_direction_NS_24const_host_device_scalarIT2_EEPKiS6_PKS3_iiS8_S4_PS3_21rocsparse_index_base_b.has_dyn_sized_stack, 0
	.set _ZN9rocsparseL22gebsrmvn_mxn_16_kernelILj55ELj11ELj5EfEEvi20rocsparse_direction_NS_24const_host_device_scalarIT2_EEPKiS6_PKS3_iiS8_S4_PS3_21rocsparse_index_base_b.has_recursion, 0
	.set _ZN9rocsparseL22gebsrmvn_mxn_16_kernelILj55ELj11ELj5EfEEvi20rocsparse_direction_NS_24const_host_device_scalarIT2_EEPKiS6_PKS3_iiS8_S4_PS3_21rocsparse_index_base_b.has_indirect_call, 0
	.section	.AMDGPU.csdata,"",@progbits
; Kernel info:
; codeLenInByte = 1008
; TotalNumSgprs: 26
; NumVgprs: 13
; ScratchSize: 0
; MemoryBound: 0
; FloatMode: 240
; IeeeMode: 1
; LDSByteSize: 220 bytes/workgroup (compile time only)
; SGPRBlocks: 3
; VGPRBlocks: 3
; NumSGPRsForWavesPerEU: 26
; NumVGPRsForWavesPerEU: 13
; Occupancy: 10
; WaveLimiterHint : 1
; COMPUTE_PGM_RSRC2:SCRATCH_EN: 0
; COMPUTE_PGM_RSRC2:USER_SGPR: 6
; COMPUTE_PGM_RSRC2:TRAP_HANDLER: 0
; COMPUTE_PGM_RSRC2:TGID_X_EN: 1
; COMPUTE_PGM_RSRC2:TGID_Y_EN: 0
; COMPUTE_PGM_RSRC2:TGID_Z_EN: 0
; COMPUTE_PGM_RSRC2:TIDIG_COMP_CNT: 0
	.section	.text._ZN9rocsparseL22gebsrmvn_mxn_16_kernelILj66ELj11ELj6EfEEvi20rocsparse_direction_NS_24const_host_device_scalarIT2_EEPKiS6_PKS3_iiS8_S4_PS3_21rocsparse_index_base_b,"axG",@progbits,_ZN9rocsparseL22gebsrmvn_mxn_16_kernelILj66ELj11ELj6EfEEvi20rocsparse_direction_NS_24const_host_device_scalarIT2_EEPKiS6_PKS3_iiS8_S4_PS3_21rocsparse_index_base_b,comdat
	.globl	_ZN9rocsparseL22gebsrmvn_mxn_16_kernelILj66ELj11ELj6EfEEvi20rocsparse_direction_NS_24const_host_device_scalarIT2_EEPKiS6_PKS3_iiS8_S4_PS3_21rocsparse_index_base_b ; -- Begin function _ZN9rocsparseL22gebsrmvn_mxn_16_kernelILj66ELj11ELj6EfEEvi20rocsparse_direction_NS_24const_host_device_scalarIT2_EEPKiS6_PKS3_iiS8_S4_PS3_21rocsparse_index_base_b
	.p2align	8
	.type	_ZN9rocsparseL22gebsrmvn_mxn_16_kernelILj66ELj11ELj6EfEEvi20rocsparse_direction_NS_24const_host_device_scalarIT2_EEPKiS6_PKS3_iiS8_S4_PS3_21rocsparse_index_base_b,@function
_ZN9rocsparseL22gebsrmvn_mxn_16_kernelILj66ELj11ELj6EfEEvi20rocsparse_direction_NS_24const_host_device_scalarIT2_EEPKiS6_PKS3_iiS8_S4_PS3_21rocsparse_index_base_b: ; @_ZN9rocsparseL22gebsrmvn_mxn_16_kernelILj66ELj11ELj6EfEEvi20rocsparse_direction_NS_24const_host_device_scalarIT2_EEPKiS6_PKS3_iiS8_S4_PS3_21rocsparse_index_base_b
; %bb.0:
	s_load_dwordx2 s[14:15], s[4:5], 0x48
	s_load_dwordx2 s[10:11], s[4:5], 0x8
	;; [unrolled: 1-line block ×3, first 2 shown]
	s_waitcnt lgkmcnt(0)
	s_bitcmp1_b32 s15, 0
	s_cselect_b64 s[2:3], -1, 0
	s_xor_b64 s[0:1], s[2:3], -1
	s_and_b64 vcc, exec, s[2:3]
	s_cbranch_vccnz .LBB23_2
; %bb.1:
	s_load_dword s10, s[10:11], 0x0
.LBB23_2:
	s_andn2_b64 vcc, exec, s[0:1]
	s_cbranch_vccnz .LBB23_4
; %bb.3:
	s_load_dword s8, s[8:9], 0x0
.LBB23_4:
	s_waitcnt lgkmcnt(0)
	v_cmp_eq_f32_e64 s[0:1], s10, 0
	v_cmp_eq_f32_e64 s[2:3], s8, 1.0
	s_and_b64 s[0:1], s[0:1], s[2:3]
	s_and_b64 vcc, exec, s[0:1]
	s_cbranch_vccnz .LBB23_36
; %bb.5:
	s_load_dwordx2 s[0:1], s[4:5], 0x10
	s_load_dword s2, s[4:5], 0x4
	v_mul_u32_u24_e32 v1, 0x2aab, v0
	v_mov_b32_e32 v2, 6
	v_mul_lo_u16_sdwa v1, v1, v2 dst_sel:DWORD dst_unused:UNUSED_PAD src0_sel:WORD_1 src1_sel:DWORD
	v_sub_u16_e32 v7, v0, v1
	s_waitcnt lgkmcnt(0)
	s_cmp_lg_u32 s2, 1
	s_cselect_b64 s[16:17], -1, 0
	s_and_b64 vcc, exec, s[16:17]
	v_mov_b32_e32 v1, v7
	s_cbranch_vccnz .LBB23_7
; %bb.6:
	s_movk_i32 s2, 0x1746
	v_mul_u32_u24_sdwa v1, v0, s2 dst_sel:DWORD dst_unused:UNUSED_PAD src0_sel:WORD_0 src1_sel:DWORD
	v_mov_b32_e32 v3, 43
	v_mul_lo_u16_sdwa v3, v1, v3 dst_sel:DWORD dst_unused:UNUSED_PAD src0_sel:WORD_1 src1_sel:DWORD
	v_mul_lo_u16_sdwa v2, v3, v2 dst_sel:DWORD dst_unused:UNUSED_PAD src0_sel:BYTE_1 src1_sel:DWORD
	v_sub_u16_sdwa v1, v1, v2 dst_sel:DWORD dst_unused:UNUSED_PAD src0_sel:WORD_1 src1_sel:DWORD
	v_and_b32_e32 v1, 0xff, v1
.LBB23_7:
	s_ashr_i32 s7, s6, 31
	s_lshl_b64 s[2:3], s[6:7], 2
	s_add_u32 s0, s0, s2
	s_addc_u32 s1, s1, s3
	s_load_dwordx2 s[20:21], s[0:1], 0x0
	s_load_dwordx2 s[12:13], s[4:5], 0x40
	v_mov_b32_e32 v6, 0
	s_waitcnt lgkmcnt(0)
	s_cmp_ge_i32 s20, s21
	s_cbranch_scc1 .LBB23_12
; %bb.8:
	s_load_dwordx4 s[0:3], s[4:5], 0x18
	s_load_dwordx2 s[18:19], s[4:5], 0x30
	s_movk_i32 s4, 0x3e1
	v_mul_u32_u24_sdwa v8, v0, s4 dst_sel:DWORD dst_unused:UNUSED_PAD src0_sel:WORD_0 src1_sel:DWORD
	s_mul_i32 s4, s20, 0x42
	v_add_u32_e32 v2, s4, v0
	s_mul_i32 s4, s14, 0x42
	v_mov_b32_e32 v3, 0
	s_sub_i32 s7, s21, s14
	s_sub_i32 s9, s20, s14
	v_subrev_u32_e32 v2, s4, v2
	v_mov_b32_e32 v6, v3
	s_branch .LBB23_10
.LBB23_9:                               ;   in Loop: Header=BB23_10 Depth=1
	s_or_b64 exec, exec, s[4:5]
	s_add_i32 s9, s9, 1
	s_cmp_ge_i32 s9, s7
	v_add_u32_e32 v2, 0x42, v2
	s_cbranch_scc1 .LBB23_12
.LBB23_10:                              ; =>This Inner Loop Header: Depth=1
	v_add_u32_sdwa v4, v8, s9 dst_sel:DWORD dst_unused:UNUSED_PAD src0_sel:WORD_1 src1_sel:DWORD
	v_cmp_gt_i32_e32 vcc, s7, v4
	s_and_saveexec_b64 s[4:5], vcc
	s_cbranch_execz .LBB23_9
; %bb.11:                               ;   in Loop: Header=BB23_10 Depth=1
	v_ashrrev_i32_e32 v5, 31, v4
	v_lshlrev_b64 v[4:5], 2, v[4:5]
	s_waitcnt lgkmcnt(0)
	v_mov_b32_e32 v9, s1
	v_add_co_u32_e32 v4, vcc, s0, v4
	v_addc_co_u32_e32 v5, vcc, v9, v5, vcc
	global_load_dword v9, v[4:5], off
	v_lshlrev_b64 v[4:5], 2, v[2:3]
	v_mov_b32_e32 v11, s3
	v_add_co_u32_e32 v4, vcc, s2, v4
	v_addc_co_u32_e32 v5, vcc, v11, v5, vcc
	global_load_dword v11, v[4:5], off
	v_mov_b32_e32 v12, s19
	s_waitcnt vmcnt(1)
	v_subrev_u32_e32 v9, s14, v9
	v_mad_u64_u32 v[9:10], s[20:21], v9, 6, v[1:2]
	v_ashrrev_i32_e32 v10, 31, v9
	v_lshlrev_b64 v[4:5], 2, v[9:10]
	v_add_co_u32_e32 v4, vcc, s18, v4
	v_addc_co_u32_e32 v5, vcc, v12, v5, vcc
	global_load_dword v4, v[4:5], off
	s_waitcnt vmcnt(0)
	v_fmac_f32_e32 v6, v11, v4
	s_branch .LBB23_9
.LBB23_12:
	v_lshlrev_b32_e32 v1, 2, v0
	s_and_b64 vcc, exec, s[16:17]
	ds_write_b32 v1, v6
	s_waitcnt lgkmcnt(0)
	s_barrier
	s_cbranch_vccz .LBB23_22
; %bb.13:
	v_cmp_gt_u16_e32 vcc, 2, v7
	s_and_saveexec_b64 s[0:1], vcc
	s_cbranch_execz .LBB23_15
; %bb.14:
	ds_read2_b32 v[2:3], v1 offset1:4
	s_waitcnt lgkmcnt(0)
	v_add_f32_e32 v2, v3, v2
	ds_write_b32 v1, v2
.LBB23_15:
	s_or_b64 exec, exec, s[0:1]
	s_waitcnt lgkmcnt(0)
	s_barrier
	s_and_saveexec_b64 s[0:1], vcc
	s_cbranch_execz .LBB23_17
; %bb.16:
	ds_read2_b32 v[2:3], v1 offset1:2
	s_waitcnt lgkmcnt(0)
	v_add_f32_e32 v2, v3, v2
	ds_write_b32 v1, v2
.LBB23_17:
	s_or_b64 exec, exec, s[0:1]
	v_cmp_eq_u16_e32 vcc, 0, v7
	s_waitcnt lgkmcnt(0)
	s_barrier
	s_and_saveexec_b64 s[0:1], vcc
	s_cbranch_execz .LBB23_19
; %bb.18:
	ds_read2_b32 v[2:3], v1 offset1:1
	s_waitcnt lgkmcnt(0)
	v_add_f32_e32 v2, v3, v2
	ds_write_b32 v1, v2
.LBB23_19:
	s_or_b64 exec, exec, s[0:1]
	v_cmp_gt_u32_e32 vcc, 11, v0
	v_mov_b32_e32 v2, v6
	s_waitcnt lgkmcnt(0)
	s_barrier
	s_and_saveexec_b64 s[0:1], vcc
; %bb.20:
	v_mad_u32_u24 v2, v0, 20, v1
	ds_read_b32 v2, v2
; %bb.21:
	s_or_b64 exec, exec, s[0:1]
	s_branch .LBB23_32
.LBB23_22:
                                        ; implicit-def: $vgpr2
	s_cbranch_execz .LBB23_32
; %bb.23:
	v_cmp_gt_u32_e32 vcc, 22, v0
	s_and_saveexec_b64 s[0:1], vcc
	s_cbranch_execz .LBB23_25
; %bb.24:
	s_waitcnt lgkmcnt(0)
	ds_read2_b32 v[2:3], v1 offset1:44
	s_waitcnt lgkmcnt(0)
	v_add_f32_e32 v2, v3, v2
	ds_write_b32 v1, v2
.LBB23_25:
	s_or_b64 exec, exec, s[0:1]
	s_waitcnt lgkmcnt(0)
	s_barrier
	s_and_saveexec_b64 s[0:1], vcc
	s_cbranch_execz .LBB23_27
; %bb.26:
	ds_read2_b32 v[2:3], v1 offset1:22
	s_waitcnt lgkmcnt(0)
	v_add_f32_e32 v2, v3, v2
	ds_write_b32 v1, v2
.LBB23_27:
	s_or_b64 exec, exec, s[0:1]
	v_cmp_lt_u32_e32 vcc, 10, v0
	s_waitcnt lgkmcnt(0)
	s_and_saveexec_b64 s[0:1], vcc
	s_xor_b64 s[0:1], exec, s[0:1]
; %bb.28:
                                        ; implicit-def: $vgpr1
; %bb.29:
	s_andn2_saveexec_b64 s[0:1], s[0:1]
	s_cbranch_execz .LBB23_31
; %bb.30:
	ds_read2_b32 v[2:3], v1 offset1:11
	s_waitcnt lgkmcnt(0)
	v_add_f32_e32 v2, v3, v2
	ds_write_b32 v1, v2
	s_waitcnt lgkmcnt(0)
	ds_read_b32 v6, v1
.LBB23_31:
	s_or_b64 exec, exec, s[0:1]
	s_waitcnt lgkmcnt(0)
	v_mov_b32_e32 v2, v6
.LBB23_32:
	v_cmp_gt_u32_e32 vcc, 11, v0
	s_and_saveexec_b64 s[0:1], vcc
	s_cbranch_execz .LBB23_36
; %bb.33:
	v_cmp_eq_f32_e64 s[0:1], s8, 0
	s_and_b64 vcc, exec, s[0:1]
	s_waitcnt lgkmcnt(0)
	v_mul_f32_e32 v1, s10, v2
	s_cbranch_vccz .LBB23_37
; %bb.34:
	v_mad_u64_u32 v[2:3], s[0:1], s6, 11, v[0:1]
	v_mov_b32_e32 v3, 0
	v_mov_b32_e32 v4, s13
	v_lshlrev_b64 v[2:3], 2, v[2:3]
	v_add_co_u32_e32 v2, vcc, s12, v2
	v_addc_co_u32_e32 v3, vcc, v4, v3, vcc
	global_store_dword v[2:3], v1, off
	s_cbranch_execnz .LBB23_36
.LBB23_35:
	v_mad_u64_u32 v[2:3], s[0:1], s6, 11, v[0:1]
	v_mov_b32_e32 v3, 0
	v_mov_b32_e32 v0, s13
	v_lshlrev_b64 v[2:3], 2, v[2:3]
	v_add_co_u32_e32 v2, vcc, s12, v2
	v_addc_co_u32_e32 v3, vcc, v0, v3, vcc
	global_load_dword v0, v[2:3], off
	s_waitcnt vmcnt(0)
	v_fmac_f32_e32 v1, s8, v0
	global_store_dword v[2:3], v1, off
.LBB23_36:
	s_endpgm
.LBB23_37:
	s_branch .LBB23_35
	.section	.rodata,"a",@progbits
	.p2align	6, 0x0
	.amdhsa_kernel _ZN9rocsparseL22gebsrmvn_mxn_16_kernelILj66ELj11ELj6EfEEvi20rocsparse_direction_NS_24const_host_device_scalarIT2_EEPKiS6_PKS3_iiS8_S4_PS3_21rocsparse_index_base_b
		.amdhsa_group_segment_fixed_size 264
		.amdhsa_private_segment_fixed_size 0
		.amdhsa_kernarg_size 80
		.amdhsa_user_sgpr_count 6
		.amdhsa_user_sgpr_private_segment_buffer 1
		.amdhsa_user_sgpr_dispatch_ptr 0
		.amdhsa_user_sgpr_queue_ptr 0
		.amdhsa_user_sgpr_kernarg_segment_ptr 1
		.amdhsa_user_sgpr_dispatch_id 0
		.amdhsa_user_sgpr_flat_scratch_init 0
		.amdhsa_user_sgpr_private_segment_size 0
		.amdhsa_uses_dynamic_stack 0
		.amdhsa_system_sgpr_private_segment_wavefront_offset 0
		.amdhsa_system_sgpr_workgroup_id_x 1
		.amdhsa_system_sgpr_workgroup_id_y 0
		.amdhsa_system_sgpr_workgroup_id_z 0
		.amdhsa_system_sgpr_workgroup_info 0
		.amdhsa_system_vgpr_workitem_id 0
		.amdhsa_next_free_vgpr 13
		.amdhsa_next_free_sgpr 22
		.amdhsa_reserve_vcc 1
		.amdhsa_reserve_flat_scratch 0
		.amdhsa_float_round_mode_32 0
		.amdhsa_float_round_mode_16_64 0
		.amdhsa_float_denorm_mode_32 3
		.amdhsa_float_denorm_mode_16_64 3
		.amdhsa_dx10_clamp 1
		.amdhsa_ieee_mode 1
		.amdhsa_fp16_overflow 0
		.amdhsa_exception_fp_ieee_invalid_op 0
		.amdhsa_exception_fp_denorm_src 0
		.amdhsa_exception_fp_ieee_div_zero 0
		.amdhsa_exception_fp_ieee_overflow 0
		.amdhsa_exception_fp_ieee_underflow 0
		.amdhsa_exception_fp_ieee_inexact 0
		.amdhsa_exception_int_div_zero 0
	.end_amdhsa_kernel
	.section	.text._ZN9rocsparseL22gebsrmvn_mxn_16_kernelILj66ELj11ELj6EfEEvi20rocsparse_direction_NS_24const_host_device_scalarIT2_EEPKiS6_PKS3_iiS8_S4_PS3_21rocsparse_index_base_b,"axG",@progbits,_ZN9rocsparseL22gebsrmvn_mxn_16_kernelILj66ELj11ELj6EfEEvi20rocsparse_direction_NS_24const_host_device_scalarIT2_EEPKiS6_PKS3_iiS8_S4_PS3_21rocsparse_index_base_b,comdat
.Lfunc_end23:
	.size	_ZN9rocsparseL22gebsrmvn_mxn_16_kernelILj66ELj11ELj6EfEEvi20rocsparse_direction_NS_24const_host_device_scalarIT2_EEPKiS6_PKS3_iiS8_S4_PS3_21rocsparse_index_base_b, .Lfunc_end23-_ZN9rocsparseL22gebsrmvn_mxn_16_kernelILj66ELj11ELj6EfEEvi20rocsparse_direction_NS_24const_host_device_scalarIT2_EEPKiS6_PKS3_iiS8_S4_PS3_21rocsparse_index_base_b
                                        ; -- End function
	.set _ZN9rocsparseL22gebsrmvn_mxn_16_kernelILj66ELj11ELj6EfEEvi20rocsparse_direction_NS_24const_host_device_scalarIT2_EEPKiS6_PKS3_iiS8_S4_PS3_21rocsparse_index_base_b.num_vgpr, 13
	.set _ZN9rocsparseL22gebsrmvn_mxn_16_kernelILj66ELj11ELj6EfEEvi20rocsparse_direction_NS_24const_host_device_scalarIT2_EEPKiS6_PKS3_iiS8_S4_PS3_21rocsparse_index_base_b.num_agpr, 0
	.set _ZN9rocsparseL22gebsrmvn_mxn_16_kernelILj66ELj11ELj6EfEEvi20rocsparse_direction_NS_24const_host_device_scalarIT2_EEPKiS6_PKS3_iiS8_S4_PS3_21rocsparse_index_base_b.numbered_sgpr, 22
	.set _ZN9rocsparseL22gebsrmvn_mxn_16_kernelILj66ELj11ELj6EfEEvi20rocsparse_direction_NS_24const_host_device_scalarIT2_EEPKiS6_PKS3_iiS8_S4_PS3_21rocsparse_index_base_b.num_named_barrier, 0
	.set _ZN9rocsparseL22gebsrmvn_mxn_16_kernelILj66ELj11ELj6EfEEvi20rocsparse_direction_NS_24const_host_device_scalarIT2_EEPKiS6_PKS3_iiS8_S4_PS3_21rocsparse_index_base_b.private_seg_size, 0
	.set _ZN9rocsparseL22gebsrmvn_mxn_16_kernelILj66ELj11ELj6EfEEvi20rocsparse_direction_NS_24const_host_device_scalarIT2_EEPKiS6_PKS3_iiS8_S4_PS3_21rocsparse_index_base_b.uses_vcc, 1
	.set _ZN9rocsparseL22gebsrmvn_mxn_16_kernelILj66ELj11ELj6EfEEvi20rocsparse_direction_NS_24const_host_device_scalarIT2_EEPKiS6_PKS3_iiS8_S4_PS3_21rocsparse_index_base_b.uses_flat_scratch, 0
	.set _ZN9rocsparseL22gebsrmvn_mxn_16_kernelILj66ELj11ELj6EfEEvi20rocsparse_direction_NS_24const_host_device_scalarIT2_EEPKiS6_PKS3_iiS8_S4_PS3_21rocsparse_index_base_b.has_dyn_sized_stack, 0
	.set _ZN9rocsparseL22gebsrmvn_mxn_16_kernelILj66ELj11ELj6EfEEvi20rocsparse_direction_NS_24const_host_device_scalarIT2_EEPKiS6_PKS3_iiS8_S4_PS3_21rocsparse_index_base_b.has_recursion, 0
	.set _ZN9rocsparseL22gebsrmvn_mxn_16_kernelILj66ELj11ELj6EfEEvi20rocsparse_direction_NS_24const_host_device_scalarIT2_EEPKiS6_PKS3_iiS8_S4_PS3_21rocsparse_index_base_b.has_indirect_call, 0
	.section	.AMDGPU.csdata,"",@progbits
; Kernel info:
; codeLenInByte = 1016
; TotalNumSgprs: 26
; NumVgprs: 13
; ScratchSize: 0
; MemoryBound: 0
; FloatMode: 240
; IeeeMode: 1
; LDSByteSize: 264 bytes/workgroup (compile time only)
; SGPRBlocks: 3
; VGPRBlocks: 3
; NumSGPRsForWavesPerEU: 26
; NumVGPRsForWavesPerEU: 13
; Occupancy: 10
; WaveLimiterHint : 1
; COMPUTE_PGM_RSRC2:SCRATCH_EN: 0
; COMPUTE_PGM_RSRC2:USER_SGPR: 6
; COMPUTE_PGM_RSRC2:TRAP_HANDLER: 0
; COMPUTE_PGM_RSRC2:TGID_X_EN: 1
; COMPUTE_PGM_RSRC2:TGID_Y_EN: 0
; COMPUTE_PGM_RSRC2:TGID_Z_EN: 0
; COMPUTE_PGM_RSRC2:TIDIG_COMP_CNT: 0
	.section	.text._ZN9rocsparseL22gebsrmvn_mxn_16_kernelILj77ELj11ELj7EfEEvi20rocsparse_direction_NS_24const_host_device_scalarIT2_EEPKiS6_PKS3_iiS8_S4_PS3_21rocsparse_index_base_b,"axG",@progbits,_ZN9rocsparseL22gebsrmvn_mxn_16_kernelILj77ELj11ELj7EfEEvi20rocsparse_direction_NS_24const_host_device_scalarIT2_EEPKiS6_PKS3_iiS8_S4_PS3_21rocsparse_index_base_b,comdat
	.globl	_ZN9rocsparseL22gebsrmvn_mxn_16_kernelILj77ELj11ELj7EfEEvi20rocsparse_direction_NS_24const_host_device_scalarIT2_EEPKiS6_PKS3_iiS8_S4_PS3_21rocsparse_index_base_b ; -- Begin function _ZN9rocsparseL22gebsrmvn_mxn_16_kernelILj77ELj11ELj7EfEEvi20rocsparse_direction_NS_24const_host_device_scalarIT2_EEPKiS6_PKS3_iiS8_S4_PS3_21rocsparse_index_base_b
	.p2align	8
	.type	_ZN9rocsparseL22gebsrmvn_mxn_16_kernelILj77ELj11ELj7EfEEvi20rocsparse_direction_NS_24const_host_device_scalarIT2_EEPKiS6_PKS3_iiS8_S4_PS3_21rocsparse_index_base_b,@function
_ZN9rocsparseL22gebsrmvn_mxn_16_kernelILj77ELj11ELj7EfEEvi20rocsparse_direction_NS_24const_host_device_scalarIT2_EEPKiS6_PKS3_iiS8_S4_PS3_21rocsparse_index_base_b: ; @_ZN9rocsparseL22gebsrmvn_mxn_16_kernelILj77ELj11ELj7EfEEvi20rocsparse_direction_NS_24const_host_device_scalarIT2_EEPKiS6_PKS3_iiS8_S4_PS3_21rocsparse_index_base_b
; %bb.0:
	s_load_dwordx2 s[14:15], s[4:5], 0x48
	s_load_dwordx2 s[10:11], s[4:5], 0x8
	;; [unrolled: 1-line block ×3, first 2 shown]
	s_waitcnt lgkmcnt(0)
	s_bitcmp1_b32 s15, 0
	s_cselect_b64 s[2:3], -1, 0
	s_xor_b64 s[0:1], s[2:3], -1
	s_and_b64 vcc, exec, s[2:3]
	s_cbranch_vccnz .LBB24_2
; %bb.1:
	s_load_dword s10, s[10:11], 0x0
.LBB24_2:
	s_andn2_b64 vcc, exec, s[0:1]
	s_cbranch_vccnz .LBB24_4
; %bb.3:
	s_load_dword s8, s[8:9], 0x0
.LBB24_4:
	s_waitcnt lgkmcnt(0)
	v_cmp_eq_f32_e64 s[0:1], s10, 0
	v_cmp_eq_f32_e64 s[2:3], s8, 1.0
	s_and_b64 s[0:1], s[0:1], s[2:3]
	s_and_b64 vcc, exec, s[0:1]
	s_cbranch_vccnz .LBB24_36
; %bb.5:
	s_load_dwordx2 s[0:1], s[4:5], 0x10
	s_load_dword s2, s[4:5], 0x4
	v_mul_u32_u24_e32 v1, 0x2493, v0
	v_mov_b32_e32 v2, 7
	v_mul_lo_u16_sdwa v1, v1, v2 dst_sel:DWORD dst_unused:UNUSED_PAD src0_sel:WORD_1 src1_sel:DWORD
	v_sub_u16_e32 v7, v0, v1
	s_waitcnt lgkmcnt(0)
	s_cmp_lg_u32 s2, 1
	s_cselect_b64 s[16:17], -1, 0
	s_and_b64 vcc, exec, s[16:17]
	v_mov_b32_e32 v1, v7
	s_cbranch_vccnz .LBB24_7
; %bb.6:
	s_movk_i32 s2, 0x1746
	v_mul_u32_u24_sdwa v1, v0, s2 dst_sel:DWORD dst_unused:UNUSED_PAD src0_sel:WORD_0 src1_sel:DWORD
	v_mov_b32_e32 v3, 37
	v_mul_lo_u16_sdwa v3, v1, v3 dst_sel:DWORD dst_unused:UNUSED_PAD src0_sel:WORD_1 src1_sel:DWORD
	v_mul_lo_u16_sdwa v2, v3, v2 dst_sel:DWORD dst_unused:UNUSED_PAD src0_sel:BYTE_1 src1_sel:DWORD
	v_sub_u16_sdwa v1, v1, v2 dst_sel:DWORD dst_unused:UNUSED_PAD src0_sel:WORD_1 src1_sel:DWORD
	v_and_b32_e32 v1, 0xff, v1
.LBB24_7:
	s_ashr_i32 s7, s6, 31
	s_lshl_b64 s[2:3], s[6:7], 2
	s_add_u32 s0, s0, s2
	s_addc_u32 s1, s1, s3
	s_load_dwordx2 s[20:21], s[0:1], 0x0
	s_load_dwordx2 s[12:13], s[4:5], 0x40
	v_mov_b32_e32 v6, 0
	s_waitcnt lgkmcnt(0)
	s_cmp_ge_i32 s20, s21
	s_cbranch_scc1 .LBB24_12
; %bb.8:
	s_load_dwordx4 s[0:3], s[4:5], 0x18
	s_load_dwordx2 s[18:19], s[4:5], 0x30
	s_movk_i32 s4, 0x354
	v_mul_u32_u24_sdwa v8, v0, s4 dst_sel:DWORD dst_unused:UNUSED_PAD src0_sel:WORD_0 src1_sel:DWORD
	s_mul_i32 s4, s20, 0x4d
	v_add_u32_e32 v2, s4, v0
	s_mul_i32 s4, s14, 0x4d
	v_mov_b32_e32 v3, 0
	s_sub_i32 s7, s21, s14
	s_sub_i32 s9, s20, s14
	v_subrev_u32_e32 v2, s4, v2
	v_mov_b32_e32 v6, v3
	s_branch .LBB24_10
.LBB24_9:                               ;   in Loop: Header=BB24_10 Depth=1
	s_or_b64 exec, exec, s[4:5]
	s_add_i32 s9, s9, 1
	s_cmp_ge_i32 s9, s7
	v_add_u32_e32 v2, 0x4d, v2
	s_cbranch_scc1 .LBB24_12
.LBB24_10:                              ; =>This Inner Loop Header: Depth=1
	v_add_u32_sdwa v4, v8, s9 dst_sel:DWORD dst_unused:UNUSED_PAD src0_sel:WORD_1 src1_sel:DWORD
	v_cmp_gt_i32_e32 vcc, s7, v4
	s_and_saveexec_b64 s[4:5], vcc
	s_cbranch_execz .LBB24_9
; %bb.11:                               ;   in Loop: Header=BB24_10 Depth=1
	v_ashrrev_i32_e32 v5, 31, v4
	v_lshlrev_b64 v[4:5], 2, v[4:5]
	s_waitcnt lgkmcnt(0)
	v_mov_b32_e32 v9, s1
	v_add_co_u32_e32 v4, vcc, s0, v4
	v_addc_co_u32_e32 v5, vcc, v9, v5, vcc
	global_load_dword v9, v[4:5], off
	v_lshlrev_b64 v[4:5], 2, v[2:3]
	v_mov_b32_e32 v11, s3
	v_add_co_u32_e32 v4, vcc, s2, v4
	v_addc_co_u32_e32 v5, vcc, v11, v5, vcc
	global_load_dword v11, v[4:5], off
	v_mov_b32_e32 v12, s19
	s_waitcnt vmcnt(1)
	v_subrev_u32_e32 v9, s14, v9
	v_mad_u64_u32 v[9:10], s[20:21], v9, 7, v[1:2]
	v_ashrrev_i32_e32 v10, 31, v9
	v_lshlrev_b64 v[4:5], 2, v[9:10]
	v_add_co_u32_e32 v4, vcc, s18, v4
	v_addc_co_u32_e32 v5, vcc, v12, v5, vcc
	global_load_dword v4, v[4:5], off
	s_waitcnt vmcnt(0)
	v_fmac_f32_e32 v6, v11, v4
	s_branch .LBB24_9
.LBB24_12:
	v_lshlrev_b32_e32 v1, 2, v0
	s_and_b64 vcc, exec, s[16:17]
	ds_write_b32 v1, v6
	s_waitcnt lgkmcnt(0)
	s_barrier
	s_cbranch_vccz .LBB24_22
; %bb.13:
	v_cmp_gt_u16_e32 vcc, 3, v7
	s_and_saveexec_b64 s[0:1], vcc
	s_cbranch_execz .LBB24_15
; %bb.14:
	ds_read2_b32 v[2:3], v1 offset1:4
	s_waitcnt lgkmcnt(0)
	v_add_f32_e32 v2, v3, v2
	ds_write_b32 v1, v2
.LBB24_15:
	s_or_b64 exec, exec, s[0:1]
	v_cmp_gt_u16_e32 vcc, 2, v7
	s_waitcnt lgkmcnt(0)
	s_barrier
	s_and_saveexec_b64 s[0:1], vcc
	s_cbranch_execz .LBB24_17
; %bb.16:
	ds_read2_b32 v[2:3], v1 offset1:2
	s_waitcnt lgkmcnt(0)
	v_add_f32_e32 v2, v3, v2
	ds_write_b32 v1, v2
.LBB24_17:
	s_or_b64 exec, exec, s[0:1]
	v_cmp_eq_u16_e32 vcc, 0, v7
	s_waitcnt lgkmcnt(0)
	s_barrier
	s_and_saveexec_b64 s[0:1], vcc
	s_cbranch_execz .LBB24_19
; %bb.18:
	ds_read2_b32 v[2:3], v1 offset1:1
	s_waitcnt lgkmcnt(0)
	v_add_f32_e32 v2, v3, v2
	ds_write_b32 v1, v2
.LBB24_19:
	s_or_b64 exec, exec, s[0:1]
	v_cmp_gt_u32_e32 vcc, 11, v0
	v_mov_b32_e32 v2, v6
	s_waitcnt lgkmcnt(0)
	s_barrier
	s_and_saveexec_b64 s[0:1], vcc
; %bb.20:
	v_mad_u32_u24 v2, v0, 24, v1
	ds_read_b32 v2, v2
; %bb.21:
	s_or_b64 exec, exec, s[0:1]
	s_branch .LBB24_32
.LBB24_22:
                                        ; implicit-def: $vgpr2
	s_cbranch_execz .LBB24_32
; %bb.23:
	v_cmp_gt_u32_e32 vcc, 33, v0
	s_and_saveexec_b64 s[0:1], vcc
	s_cbranch_execz .LBB24_25
; %bb.24:
	s_waitcnt lgkmcnt(0)
	ds_read2_b32 v[2:3], v1 offset1:44
	s_waitcnt lgkmcnt(0)
	v_add_f32_e32 v2, v3, v2
	ds_write_b32 v1, v2
.LBB24_25:
	s_or_b64 exec, exec, s[0:1]
	v_cmp_gt_u32_e32 vcc, 22, v0
	s_waitcnt lgkmcnt(0)
	s_barrier
	s_and_saveexec_b64 s[0:1], vcc
	s_cbranch_execz .LBB24_27
; %bb.26:
	ds_read2_b32 v[2:3], v1 offset1:22
	s_waitcnt lgkmcnt(0)
	v_add_f32_e32 v2, v3, v2
	ds_write_b32 v1, v2
.LBB24_27:
	s_or_b64 exec, exec, s[0:1]
	v_cmp_lt_u32_e32 vcc, 10, v0
	s_waitcnt lgkmcnt(0)
	s_and_saveexec_b64 s[0:1], vcc
	s_xor_b64 s[0:1], exec, s[0:1]
; %bb.28:
                                        ; implicit-def: $vgpr1
; %bb.29:
	s_andn2_saveexec_b64 s[0:1], s[0:1]
	s_cbranch_execz .LBB24_31
; %bb.30:
	ds_read2_b32 v[2:3], v1 offset1:11
	s_waitcnt lgkmcnt(0)
	v_add_f32_e32 v2, v3, v2
	ds_write_b32 v1, v2
	s_waitcnt lgkmcnt(0)
	ds_read_b32 v6, v1
.LBB24_31:
	s_or_b64 exec, exec, s[0:1]
	s_waitcnt lgkmcnt(0)
	v_mov_b32_e32 v2, v6
.LBB24_32:
	v_cmp_gt_u32_e32 vcc, 11, v0
	s_and_saveexec_b64 s[0:1], vcc
	s_cbranch_execz .LBB24_36
; %bb.33:
	v_cmp_eq_f32_e64 s[0:1], s8, 0
	s_and_b64 vcc, exec, s[0:1]
	s_waitcnt lgkmcnt(0)
	v_mul_f32_e32 v1, s10, v2
	s_cbranch_vccz .LBB24_37
; %bb.34:
	v_mad_u64_u32 v[2:3], s[0:1], s6, 11, v[0:1]
	v_mov_b32_e32 v3, 0
	v_mov_b32_e32 v4, s13
	v_lshlrev_b64 v[2:3], 2, v[2:3]
	v_add_co_u32_e32 v2, vcc, s12, v2
	v_addc_co_u32_e32 v3, vcc, v4, v3, vcc
	global_store_dword v[2:3], v1, off
	s_cbranch_execnz .LBB24_36
.LBB24_35:
	v_mad_u64_u32 v[2:3], s[0:1], s6, 11, v[0:1]
	v_mov_b32_e32 v3, 0
	v_mov_b32_e32 v0, s13
	v_lshlrev_b64 v[2:3], 2, v[2:3]
	v_add_co_u32_e32 v2, vcc, s12, v2
	v_addc_co_u32_e32 v3, vcc, v0, v3, vcc
	global_load_dword v0, v[2:3], off
	s_waitcnt vmcnt(0)
	v_fmac_f32_e32 v1, s8, v0
	global_store_dword v[2:3], v1, off
.LBB24_36:
	s_endpgm
.LBB24_37:
	s_branch .LBB24_35
	.section	.rodata,"a",@progbits
	.p2align	6, 0x0
	.amdhsa_kernel _ZN9rocsparseL22gebsrmvn_mxn_16_kernelILj77ELj11ELj7EfEEvi20rocsparse_direction_NS_24const_host_device_scalarIT2_EEPKiS6_PKS3_iiS8_S4_PS3_21rocsparse_index_base_b
		.amdhsa_group_segment_fixed_size 308
		.amdhsa_private_segment_fixed_size 0
		.amdhsa_kernarg_size 80
		.amdhsa_user_sgpr_count 6
		.amdhsa_user_sgpr_private_segment_buffer 1
		.amdhsa_user_sgpr_dispatch_ptr 0
		.amdhsa_user_sgpr_queue_ptr 0
		.amdhsa_user_sgpr_kernarg_segment_ptr 1
		.amdhsa_user_sgpr_dispatch_id 0
		.amdhsa_user_sgpr_flat_scratch_init 0
		.amdhsa_user_sgpr_private_segment_size 0
		.amdhsa_uses_dynamic_stack 0
		.amdhsa_system_sgpr_private_segment_wavefront_offset 0
		.amdhsa_system_sgpr_workgroup_id_x 1
		.amdhsa_system_sgpr_workgroup_id_y 0
		.amdhsa_system_sgpr_workgroup_id_z 0
		.amdhsa_system_sgpr_workgroup_info 0
		.amdhsa_system_vgpr_workitem_id 0
		.amdhsa_next_free_vgpr 13
		.amdhsa_next_free_sgpr 22
		.amdhsa_reserve_vcc 1
		.amdhsa_reserve_flat_scratch 0
		.amdhsa_float_round_mode_32 0
		.amdhsa_float_round_mode_16_64 0
		.amdhsa_float_denorm_mode_32 3
		.amdhsa_float_denorm_mode_16_64 3
		.amdhsa_dx10_clamp 1
		.amdhsa_ieee_mode 1
		.amdhsa_fp16_overflow 0
		.amdhsa_exception_fp_ieee_invalid_op 0
		.amdhsa_exception_fp_denorm_src 0
		.amdhsa_exception_fp_ieee_div_zero 0
		.amdhsa_exception_fp_ieee_overflow 0
		.amdhsa_exception_fp_ieee_underflow 0
		.amdhsa_exception_fp_ieee_inexact 0
		.amdhsa_exception_int_div_zero 0
	.end_amdhsa_kernel
	.section	.text._ZN9rocsparseL22gebsrmvn_mxn_16_kernelILj77ELj11ELj7EfEEvi20rocsparse_direction_NS_24const_host_device_scalarIT2_EEPKiS6_PKS3_iiS8_S4_PS3_21rocsparse_index_base_b,"axG",@progbits,_ZN9rocsparseL22gebsrmvn_mxn_16_kernelILj77ELj11ELj7EfEEvi20rocsparse_direction_NS_24const_host_device_scalarIT2_EEPKiS6_PKS3_iiS8_S4_PS3_21rocsparse_index_base_b,comdat
.Lfunc_end24:
	.size	_ZN9rocsparseL22gebsrmvn_mxn_16_kernelILj77ELj11ELj7EfEEvi20rocsparse_direction_NS_24const_host_device_scalarIT2_EEPKiS6_PKS3_iiS8_S4_PS3_21rocsparse_index_base_b, .Lfunc_end24-_ZN9rocsparseL22gebsrmvn_mxn_16_kernelILj77ELj11ELj7EfEEvi20rocsparse_direction_NS_24const_host_device_scalarIT2_EEPKiS6_PKS3_iiS8_S4_PS3_21rocsparse_index_base_b
                                        ; -- End function
	.set _ZN9rocsparseL22gebsrmvn_mxn_16_kernelILj77ELj11ELj7EfEEvi20rocsparse_direction_NS_24const_host_device_scalarIT2_EEPKiS6_PKS3_iiS8_S4_PS3_21rocsparse_index_base_b.num_vgpr, 13
	.set _ZN9rocsparseL22gebsrmvn_mxn_16_kernelILj77ELj11ELj7EfEEvi20rocsparse_direction_NS_24const_host_device_scalarIT2_EEPKiS6_PKS3_iiS8_S4_PS3_21rocsparse_index_base_b.num_agpr, 0
	.set _ZN9rocsparseL22gebsrmvn_mxn_16_kernelILj77ELj11ELj7EfEEvi20rocsparse_direction_NS_24const_host_device_scalarIT2_EEPKiS6_PKS3_iiS8_S4_PS3_21rocsparse_index_base_b.numbered_sgpr, 22
	.set _ZN9rocsparseL22gebsrmvn_mxn_16_kernelILj77ELj11ELj7EfEEvi20rocsparse_direction_NS_24const_host_device_scalarIT2_EEPKiS6_PKS3_iiS8_S4_PS3_21rocsparse_index_base_b.num_named_barrier, 0
	.set _ZN9rocsparseL22gebsrmvn_mxn_16_kernelILj77ELj11ELj7EfEEvi20rocsparse_direction_NS_24const_host_device_scalarIT2_EEPKiS6_PKS3_iiS8_S4_PS3_21rocsparse_index_base_b.private_seg_size, 0
	.set _ZN9rocsparseL22gebsrmvn_mxn_16_kernelILj77ELj11ELj7EfEEvi20rocsparse_direction_NS_24const_host_device_scalarIT2_EEPKiS6_PKS3_iiS8_S4_PS3_21rocsparse_index_base_b.uses_vcc, 1
	.set _ZN9rocsparseL22gebsrmvn_mxn_16_kernelILj77ELj11ELj7EfEEvi20rocsparse_direction_NS_24const_host_device_scalarIT2_EEPKiS6_PKS3_iiS8_S4_PS3_21rocsparse_index_base_b.uses_flat_scratch, 0
	.set _ZN9rocsparseL22gebsrmvn_mxn_16_kernelILj77ELj11ELj7EfEEvi20rocsparse_direction_NS_24const_host_device_scalarIT2_EEPKiS6_PKS3_iiS8_S4_PS3_21rocsparse_index_base_b.has_dyn_sized_stack, 0
	.set _ZN9rocsparseL22gebsrmvn_mxn_16_kernelILj77ELj11ELj7EfEEvi20rocsparse_direction_NS_24const_host_device_scalarIT2_EEPKiS6_PKS3_iiS8_S4_PS3_21rocsparse_index_base_b.has_recursion, 0
	.set _ZN9rocsparseL22gebsrmvn_mxn_16_kernelILj77ELj11ELj7EfEEvi20rocsparse_direction_NS_24const_host_device_scalarIT2_EEPKiS6_PKS3_iiS8_S4_PS3_21rocsparse_index_base_b.has_indirect_call, 0
	.section	.AMDGPU.csdata,"",@progbits
; Kernel info:
; codeLenInByte = 1024
; TotalNumSgprs: 26
; NumVgprs: 13
; ScratchSize: 0
; MemoryBound: 0
; FloatMode: 240
; IeeeMode: 1
; LDSByteSize: 308 bytes/workgroup (compile time only)
; SGPRBlocks: 3
; VGPRBlocks: 3
; NumSGPRsForWavesPerEU: 26
; NumVGPRsForWavesPerEU: 13
; Occupancy: 10
; WaveLimiterHint : 1
; COMPUTE_PGM_RSRC2:SCRATCH_EN: 0
; COMPUTE_PGM_RSRC2:USER_SGPR: 6
; COMPUTE_PGM_RSRC2:TRAP_HANDLER: 0
; COMPUTE_PGM_RSRC2:TGID_X_EN: 1
; COMPUTE_PGM_RSRC2:TGID_Y_EN: 0
; COMPUTE_PGM_RSRC2:TGID_Z_EN: 0
; COMPUTE_PGM_RSRC2:TIDIG_COMP_CNT: 0
	.section	.text._ZN9rocsparseL22gebsrmvn_mxn_16_kernelILj88ELj11ELj8EfEEvi20rocsparse_direction_NS_24const_host_device_scalarIT2_EEPKiS6_PKS3_iiS8_S4_PS3_21rocsparse_index_base_b,"axG",@progbits,_ZN9rocsparseL22gebsrmvn_mxn_16_kernelILj88ELj11ELj8EfEEvi20rocsparse_direction_NS_24const_host_device_scalarIT2_EEPKiS6_PKS3_iiS8_S4_PS3_21rocsparse_index_base_b,comdat
	.globl	_ZN9rocsparseL22gebsrmvn_mxn_16_kernelILj88ELj11ELj8EfEEvi20rocsparse_direction_NS_24const_host_device_scalarIT2_EEPKiS6_PKS3_iiS8_S4_PS3_21rocsparse_index_base_b ; -- Begin function _ZN9rocsparseL22gebsrmvn_mxn_16_kernelILj88ELj11ELj8EfEEvi20rocsparse_direction_NS_24const_host_device_scalarIT2_EEPKiS6_PKS3_iiS8_S4_PS3_21rocsparse_index_base_b
	.p2align	8
	.type	_ZN9rocsparseL22gebsrmvn_mxn_16_kernelILj88ELj11ELj8EfEEvi20rocsparse_direction_NS_24const_host_device_scalarIT2_EEPKiS6_PKS3_iiS8_S4_PS3_21rocsparse_index_base_b,@function
_ZN9rocsparseL22gebsrmvn_mxn_16_kernelILj88ELj11ELj8EfEEvi20rocsparse_direction_NS_24const_host_device_scalarIT2_EEPKiS6_PKS3_iiS8_S4_PS3_21rocsparse_index_base_b: ; @_ZN9rocsparseL22gebsrmvn_mxn_16_kernelILj88ELj11ELj8EfEEvi20rocsparse_direction_NS_24const_host_device_scalarIT2_EEPKiS6_PKS3_iiS8_S4_PS3_21rocsparse_index_base_b
; %bb.0:
	s_load_dwordx2 s[14:15], s[4:5], 0x48
	s_load_dwordx2 s[10:11], s[4:5], 0x8
	;; [unrolled: 1-line block ×3, first 2 shown]
	s_waitcnt lgkmcnt(0)
	s_bitcmp1_b32 s15, 0
	s_cselect_b64 s[2:3], -1, 0
	s_xor_b64 s[0:1], s[2:3], -1
	s_and_b64 vcc, exec, s[2:3]
	s_cbranch_vccnz .LBB25_2
; %bb.1:
	s_load_dword s10, s[10:11], 0x0
.LBB25_2:
	s_andn2_b64 vcc, exec, s[0:1]
	s_cbranch_vccnz .LBB25_4
; %bb.3:
	s_load_dword s8, s[8:9], 0x0
.LBB25_4:
	s_waitcnt lgkmcnt(0)
	v_cmp_eq_f32_e64 s[0:1], s10, 0
	v_cmp_eq_f32_e64 s[2:3], s8, 1.0
	s_and_b64 s[0:1], s[0:1], s[2:3]
	s_and_b64 vcc, exec, s[0:1]
	s_cbranch_vccnz .LBB25_36
; %bb.5:
	s_load_dword s2, s[4:5], 0x4
	s_load_dwordx2 s[0:1], s[4:5], 0x10
	v_and_b32_e32 v6, 7, v0
	v_mov_b32_e32 v7, v6
	s_waitcnt lgkmcnt(0)
	s_cmp_lg_u32 s2, 1
	s_cselect_b64 s[16:17], -1, 0
	s_and_b64 vcc, exec, s[16:17]
	s_cbranch_vccnz .LBB25_7
; %bb.6:
	v_mul_u32_u24_e32 v1, 0x1746, v0
	v_bfe_u32 v7, v1, 16, 3
.LBB25_7:
	s_ashr_i32 s7, s6, 31
	s_lshl_b64 s[2:3], s[6:7], 2
	s_add_u32 s0, s0, s2
	s_addc_u32 s1, s1, s3
	s_load_dwordx2 s[20:21], s[0:1], 0x0
	s_load_dwordx2 s[12:13], s[4:5], 0x40
	v_mov_b32_e32 v5, 0
	s_waitcnt lgkmcnt(0)
	s_cmp_ge_i32 s20, s21
	s_cbranch_scc1 .LBB25_12
; %bb.8:
	s_load_dwordx4 s[0:3], s[4:5], 0x18
	s_load_dwordx2 s[18:19], s[4:5], 0x30
	s_mul_i32 s4, s20, 0x58
	v_add_u32_e32 v1, s4, v0
	s_mul_i32 s4, s14, 0x58
	v_mov_b32_e32 v2, 0
	s_sub_i32 s7, s21, s14
	s_sub_i32 s9, s20, s14
	v_mul_u32_u24_e32 v8, 0x2e9, v0
	v_subrev_u32_e32 v1, s4, v1
	v_mov_b32_e32 v5, v2
	s_branch .LBB25_10
.LBB25_9:                               ;   in Loop: Header=BB25_10 Depth=1
	s_or_b64 exec, exec, s[4:5]
	s_add_i32 s9, s9, 1
	s_cmp_ge_i32 s9, s7
	v_add_u32_e32 v1, 0x58, v1
	s_cbranch_scc1 .LBB25_12
.LBB25_10:                              ; =>This Inner Loop Header: Depth=1
	v_add_u32_sdwa v3, v8, s9 dst_sel:DWORD dst_unused:UNUSED_PAD src0_sel:WORD_1 src1_sel:DWORD
	v_cmp_gt_i32_e32 vcc, s7, v3
	s_and_saveexec_b64 s[4:5], vcc
	s_cbranch_execz .LBB25_9
; %bb.11:                               ;   in Loop: Header=BB25_10 Depth=1
	v_ashrrev_i32_e32 v4, 31, v3
	v_lshlrev_b64 v[3:4], 2, v[3:4]
	s_waitcnt lgkmcnt(0)
	v_mov_b32_e32 v9, s1
	v_add_co_u32_e32 v3, vcc, s0, v3
	v_addc_co_u32_e32 v4, vcc, v9, v4, vcc
	global_load_dword v9, v[3:4], off
	v_lshlrev_b64 v[3:4], 2, v[1:2]
	v_mov_b32_e32 v10, s3
	v_add_co_u32_e32 v3, vcc, s2, v3
	v_addc_co_u32_e32 v4, vcc, v10, v4, vcc
	global_load_dword v10, v[3:4], off
	v_mov_b32_e32 v11, s19
	s_waitcnt vmcnt(1)
	v_subrev_u32_e32 v3, s14, v9
	v_lshl_or_b32 v3, v3, 3, v7
	v_ashrrev_i32_e32 v4, 31, v3
	v_lshlrev_b64 v[3:4], 2, v[3:4]
	v_add_co_u32_e32 v3, vcc, s18, v3
	v_addc_co_u32_e32 v4, vcc, v11, v4, vcc
	global_load_dword v3, v[3:4], off
	s_waitcnt vmcnt(0)
	v_fmac_f32_e32 v5, v10, v3
	s_branch .LBB25_9
.LBB25_12:
	v_lshlrev_b32_e32 v1, 2, v0
	s_and_b64 vcc, exec, s[16:17]
	ds_write_b32 v1, v5
	s_waitcnt lgkmcnt(0)
	s_barrier
	s_cbranch_vccz .LBB25_22
; %bb.13:
	v_cmp_gt_u32_e32 vcc, 4, v6
	s_and_saveexec_b64 s[0:1], vcc
	s_cbranch_execz .LBB25_15
; %bb.14:
	ds_read2_b32 v[2:3], v1 offset1:4
	s_waitcnt lgkmcnt(0)
	v_add_f32_e32 v2, v3, v2
	ds_write_b32 v1, v2
.LBB25_15:
	s_or_b64 exec, exec, s[0:1]
	v_cmp_gt_u32_e32 vcc, 2, v6
	s_waitcnt lgkmcnt(0)
	s_barrier
	s_and_saveexec_b64 s[0:1], vcc
	s_cbranch_execz .LBB25_17
; %bb.16:
	ds_read2_b32 v[2:3], v1 offset1:2
	s_waitcnt lgkmcnt(0)
	v_add_f32_e32 v2, v3, v2
	ds_write_b32 v1, v2
.LBB25_17:
	s_or_b64 exec, exec, s[0:1]
	v_cmp_eq_u32_e32 vcc, 0, v6
	s_waitcnt lgkmcnt(0)
	s_barrier
	s_and_saveexec_b64 s[0:1], vcc
	s_cbranch_execz .LBB25_19
; %bb.18:
	ds_read2_b32 v[2:3], v1 offset1:1
	s_waitcnt lgkmcnt(0)
	v_add_f32_e32 v2, v3, v2
	ds_write_b32 v1, v2
.LBB25_19:
	s_or_b64 exec, exec, s[0:1]
	v_cmp_gt_u32_e32 vcc, 11, v0
	v_mov_b32_e32 v2, v5
	s_waitcnt lgkmcnt(0)
	s_barrier
	s_and_saveexec_b64 s[0:1], vcc
; %bb.20:
	v_mad_u32_u24 v2, v0, 28, v1
	ds_read_b32 v2, v2
; %bb.21:
	s_or_b64 exec, exec, s[0:1]
	s_branch .LBB25_32
.LBB25_22:
                                        ; implicit-def: $vgpr2
	s_cbranch_execz .LBB25_32
; %bb.23:
	v_cmp_gt_u32_e32 vcc, 44, v0
	s_and_saveexec_b64 s[0:1], vcc
	s_cbranch_execz .LBB25_25
; %bb.24:
	s_waitcnt lgkmcnt(0)
	ds_read2_b32 v[2:3], v1 offset1:44
	s_waitcnt lgkmcnt(0)
	v_add_f32_e32 v2, v3, v2
	ds_write_b32 v1, v2
.LBB25_25:
	s_or_b64 exec, exec, s[0:1]
	v_cmp_gt_u32_e32 vcc, 22, v0
	s_waitcnt lgkmcnt(0)
	s_barrier
	s_and_saveexec_b64 s[0:1], vcc
	s_cbranch_execz .LBB25_27
; %bb.26:
	ds_read2_b32 v[2:3], v1 offset1:22
	s_waitcnt lgkmcnt(0)
	v_add_f32_e32 v2, v3, v2
	ds_write_b32 v1, v2
.LBB25_27:
	s_or_b64 exec, exec, s[0:1]
	v_cmp_lt_u32_e32 vcc, 10, v0
	s_waitcnt lgkmcnt(0)
	s_and_saveexec_b64 s[0:1], vcc
	s_xor_b64 s[0:1], exec, s[0:1]
; %bb.28:
                                        ; implicit-def: $vgpr1
; %bb.29:
	s_andn2_saveexec_b64 s[0:1], s[0:1]
	s_cbranch_execz .LBB25_31
; %bb.30:
	ds_read2_b32 v[2:3], v1 offset1:11
	s_waitcnt lgkmcnt(0)
	v_add_f32_e32 v2, v3, v2
	ds_write_b32 v1, v2
	s_waitcnt lgkmcnt(0)
	ds_read_b32 v5, v1
.LBB25_31:
	s_or_b64 exec, exec, s[0:1]
	s_waitcnt lgkmcnt(0)
	v_mov_b32_e32 v2, v5
.LBB25_32:
	v_cmp_gt_u32_e32 vcc, 11, v0
	s_and_saveexec_b64 s[0:1], vcc
	s_cbranch_execz .LBB25_36
; %bb.33:
	v_cmp_eq_f32_e64 s[0:1], s8, 0
	s_and_b64 vcc, exec, s[0:1]
	s_waitcnt lgkmcnt(0)
	v_mul_f32_e32 v1, s10, v2
	s_cbranch_vccz .LBB25_37
; %bb.34:
	v_mad_u64_u32 v[2:3], s[0:1], s6, 11, v[0:1]
	v_mov_b32_e32 v3, 0
	v_mov_b32_e32 v4, s13
	v_lshlrev_b64 v[2:3], 2, v[2:3]
	v_add_co_u32_e32 v2, vcc, s12, v2
	v_addc_co_u32_e32 v3, vcc, v4, v3, vcc
	global_store_dword v[2:3], v1, off
	s_cbranch_execnz .LBB25_36
.LBB25_35:
	v_mad_u64_u32 v[2:3], s[0:1], s6, 11, v[0:1]
	v_mov_b32_e32 v3, 0
	v_mov_b32_e32 v0, s13
	v_lshlrev_b64 v[2:3], 2, v[2:3]
	v_add_co_u32_e32 v2, vcc, s12, v2
	v_addc_co_u32_e32 v3, vcc, v0, v3, vcc
	global_load_dword v0, v[2:3], off
	s_waitcnt vmcnt(0)
	v_fmac_f32_e32 v1, s8, v0
	global_store_dword v[2:3], v1, off
.LBB25_36:
	s_endpgm
.LBB25_37:
	s_branch .LBB25_35
	.section	.rodata,"a",@progbits
	.p2align	6, 0x0
	.amdhsa_kernel _ZN9rocsparseL22gebsrmvn_mxn_16_kernelILj88ELj11ELj8EfEEvi20rocsparse_direction_NS_24const_host_device_scalarIT2_EEPKiS6_PKS3_iiS8_S4_PS3_21rocsparse_index_base_b
		.amdhsa_group_segment_fixed_size 352
		.amdhsa_private_segment_fixed_size 0
		.amdhsa_kernarg_size 80
		.amdhsa_user_sgpr_count 6
		.amdhsa_user_sgpr_private_segment_buffer 1
		.amdhsa_user_sgpr_dispatch_ptr 0
		.amdhsa_user_sgpr_queue_ptr 0
		.amdhsa_user_sgpr_kernarg_segment_ptr 1
		.amdhsa_user_sgpr_dispatch_id 0
		.amdhsa_user_sgpr_flat_scratch_init 0
		.amdhsa_user_sgpr_private_segment_size 0
		.amdhsa_uses_dynamic_stack 0
		.amdhsa_system_sgpr_private_segment_wavefront_offset 0
		.amdhsa_system_sgpr_workgroup_id_x 1
		.amdhsa_system_sgpr_workgroup_id_y 0
		.amdhsa_system_sgpr_workgroup_id_z 0
		.amdhsa_system_sgpr_workgroup_info 0
		.amdhsa_system_vgpr_workitem_id 0
		.amdhsa_next_free_vgpr 12
		.amdhsa_next_free_sgpr 22
		.amdhsa_reserve_vcc 1
		.amdhsa_reserve_flat_scratch 0
		.amdhsa_float_round_mode_32 0
		.amdhsa_float_round_mode_16_64 0
		.amdhsa_float_denorm_mode_32 3
		.amdhsa_float_denorm_mode_16_64 3
		.amdhsa_dx10_clamp 1
		.amdhsa_ieee_mode 1
		.amdhsa_fp16_overflow 0
		.amdhsa_exception_fp_ieee_invalid_op 0
		.amdhsa_exception_fp_denorm_src 0
		.amdhsa_exception_fp_ieee_div_zero 0
		.amdhsa_exception_fp_ieee_overflow 0
		.amdhsa_exception_fp_ieee_underflow 0
		.amdhsa_exception_fp_ieee_inexact 0
		.amdhsa_exception_int_div_zero 0
	.end_amdhsa_kernel
	.section	.text._ZN9rocsparseL22gebsrmvn_mxn_16_kernelILj88ELj11ELj8EfEEvi20rocsparse_direction_NS_24const_host_device_scalarIT2_EEPKiS6_PKS3_iiS8_S4_PS3_21rocsparse_index_base_b,"axG",@progbits,_ZN9rocsparseL22gebsrmvn_mxn_16_kernelILj88ELj11ELj8EfEEvi20rocsparse_direction_NS_24const_host_device_scalarIT2_EEPKiS6_PKS3_iiS8_S4_PS3_21rocsparse_index_base_b,comdat
.Lfunc_end25:
	.size	_ZN9rocsparseL22gebsrmvn_mxn_16_kernelILj88ELj11ELj8EfEEvi20rocsparse_direction_NS_24const_host_device_scalarIT2_EEPKiS6_PKS3_iiS8_S4_PS3_21rocsparse_index_base_b, .Lfunc_end25-_ZN9rocsparseL22gebsrmvn_mxn_16_kernelILj88ELj11ELj8EfEEvi20rocsparse_direction_NS_24const_host_device_scalarIT2_EEPKiS6_PKS3_iiS8_S4_PS3_21rocsparse_index_base_b
                                        ; -- End function
	.set _ZN9rocsparseL22gebsrmvn_mxn_16_kernelILj88ELj11ELj8EfEEvi20rocsparse_direction_NS_24const_host_device_scalarIT2_EEPKiS6_PKS3_iiS8_S4_PS3_21rocsparse_index_base_b.num_vgpr, 12
	.set _ZN9rocsparseL22gebsrmvn_mxn_16_kernelILj88ELj11ELj8EfEEvi20rocsparse_direction_NS_24const_host_device_scalarIT2_EEPKiS6_PKS3_iiS8_S4_PS3_21rocsparse_index_base_b.num_agpr, 0
	.set _ZN9rocsparseL22gebsrmvn_mxn_16_kernelILj88ELj11ELj8EfEEvi20rocsparse_direction_NS_24const_host_device_scalarIT2_EEPKiS6_PKS3_iiS8_S4_PS3_21rocsparse_index_base_b.numbered_sgpr, 22
	.set _ZN9rocsparseL22gebsrmvn_mxn_16_kernelILj88ELj11ELj8EfEEvi20rocsparse_direction_NS_24const_host_device_scalarIT2_EEPKiS6_PKS3_iiS8_S4_PS3_21rocsparse_index_base_b.num_named_barrier, 0
	.set _ZN9rocsparseL22gebsrmvn_mxn_16_kernelILj88ELj11ELj8EfEEvi20rocsparse_direction_NS_24const_host_device_scalarIT2_EEPKiS6_PKS3_iiS8_S4_PS3_21rocsparse_index_base_b.private_seg_size, 0
	.set _ZN9rocsparseL22gebsrmvn_mxn_16_kernelILj88ELj11ELj8EfEEvi20rocsparse_direction_NS_24const_host_device_scalarIT2_EEPKiS6_PKS3_iiS8_S4_PS3_21rocsparse_index_base_b.uses_vcc, 1
	.set _ZN9rocsparseL22gebsrmvn_mxn_16_kernelILj88ELj11ELj8EfEEvi20rocsparse_direction_NS_24const_host_device_scalarIT2_EEPKiS6_PKS3_iiS8_S4_PS3_21rocsparse_index_base_b.uses_flat_scratch, 0
	.set _ZN9rocsparseL22gebsrmvn_mxn_16_kernelILj88ELj11ELj8EfEEvi20rocsparse_direction_NS_24const_host_device_scalarIT2_EEPKiS6_PKS3_iiS8_S4_PS3_21rocsparse_index_base_b.has_dyn_sized_stack, 0
	.set _ZN9rocsparseL22gebsrmvn_mxn_16_kernelILj88ELj11ELj8EfEEvi20rocsparse_direction_NS_24const_host_device_scalarIT2_EEPKiS6_PKS3_iiS8_S4_PS3_21rocsparse_index_base_b.has_recursion, 0
	.set _ZN9rocsparseL22gebsrmvn_mxn_16_kernelILj88ELj11ELj8EfEEvi20rocsparse_direction_NS_24const_host_device_scalarIT2_EEPKiS6_PKS3_iiS8_S4_PS3_21rocsparse_index_base_b.has_indirect_call, 0
	.section	.AMDGPU.csdata,"",@progbits
; Kernel info:
; codeLenInByte = 968
; TotalNumSgprs: 26
; NumVgprs: 12
; ScratchSize: 0
; MemoryBound: 0
; FloatMode: 240
; IeeeMode: 1
; LDSByteSize: 352 bytes/workgroup (compile time only)
; SGPRBlocks: 3
; VGPRBlocks: 2
; NumSGPRsForWavesPerEU: 26
; NumVGPRsForWavesPerEU: 12
; Occupancy: 10
; WaveLimiterHint : 1
; COMPUTE_PGM_RSRC2:SCRATCH_EN: 0
; COMPUTE_PGM_RSRC2:USER_SGPR: 6
; COMPUTE_PGM_RSRC2:TRAP_HANDLER: 0
; COMPUTE_PGM_RSRC2:TGID_X_EN: 1
; COMPUTE_PGM_RSRC2:TGID_Y_EN: 0
; COMPUTE_PGM_RSRC2:TGID_Z_EN: 0
; COMPUTE_PGM_RSRC2:TIDIG_COMP_CNT: 0
	.section	.text._ZN9rocsparseL22gebsrmvn_mxn_16_kernelILj60ELj12ELj1EfEEvi20rocsparse_direction_NS_24const_host_device_scalarIT2_EEPKiS6_PKS3_iiS8_S4_PS3_21rocsparse_index_base_b,"axG",@progbits,_ZN9rocsparseL22gebsrmvn_mxn_16_kernelILj60ELj12ELj1EfEEvi20rocsparse_direction_NS_24const_host_device_scalarIT2_EEPKiS6_PKS3_iiS8_S4_PS3_21rocsparse_index_base_b,comdat
	.globl	_ZN9rocsparseL22gebsrmvn_mxn_16_kernelILj60ELj12ELj1EfEEvi20rocsparse_direction_NS_24const_host_device_scalarIT2_EEPKiS6_PKS3_iiS8_S4_PS3_21rocsparse_index_base_b ; -- Begin function _ZN9rocsparseL22gebsrmvn_mxn_16_kernelILj60ELj12ELj1EfEEvi20rocsparse_direction_NS_24const_host_device_scalarIT2_EEPKiS6_PKS3_iiS8_S4_PS3_21rocsparse_index_base_b
	.p2align	8
	.type	_ZN9rocsparseL22gebsrmvn_mxn_16_kernelILj60ELj12ELj1EfEEvi20rocsparse_direction_NS_24const_host_device_scalarIT2_EEPKiS6_PKS3_iiS8_S4_PS3_21rocsparse_index_base_b,@function
_ZN9rocsparseL22gebsrmvn_mxn_16_kernelILj60ELj12ELj1EfEEvi20rocsparse_direction_NS_24const_host_device_scalarIT2_EEPKiS6_PKS3_iiS8_S4_PS3_21rocsparse_index_base_b: ; @_ZN9rocsparseL22gebsrmvn_mxn_16_kernelILj60ELj12ELj1EfEEvi20rocsparse_direction_NS_24const_host_device_scalarIT2_EEPKiS6_PKS3_iiS8_S4_PS3_21rocsparse_index_base_b
; %bb.0:
	s_load_dwordx2 s[14:15], s[4:5], 0x48
	s_load_dwordx2 s[10:11], s[4:5], 0x8
	;; [unrolled: 1-line block ×3, first 2 shown]
	s_waitcnt lgkmcnt(0)
	s_bitcmp1_b32 s15, 0
	s_cselect_b64 s[2:3], -1, 0
	s_xor_b64 s[0:1], s[2:3], -1
	s_and_b64 vcc, exec, s[2:3]
	s_cbranch_vccnz .LBB26_2
; %bb.1:
	s_load_dword s10, s[10:11], 0x0
.LBB26_2:
	s_andn2_b64 vcc, exec, s[0:1]
	s_cbranch_vccnz .LBB26_4
; %bb.3:
	s_load_dword s8, s[8:9], 0x0
.LBB26_4:
	s_waitcnt lgkmcnt(0)
	v_cmp_eq_f32_e64 s[0:1], s10, 0
	v_cmp_eq_f32_e64 s[2:3], s8, 1.0
	s_and_b64 s[0:1], s[0:1], s[2:3]
	s_and_b64 vcc, exec, s[0:1]
	s_cbranch_vccnz .LBB26_22
; %bb.5:
	s_load_dwordx2 s[0:1], s[4:5], 0x10
	s_ashr_i32 s7, s6, 31
	s_lshl_b64 s[2:3], s[6:7], 2
	s_waitcnt lgkmcnt(0)
	s_add_u32 s0, s0, s2
	s_addc_u32 s1, s1, s3
	s_load_dwordx2 s[18:19], s[0:1], 0x0
	s_waitcnt lgkmcnt(0)
	s_cmp_lt_i32 s18, s19
	s_cbranch_scc1 .LBB26_7
; %bb.6:
	s_load_dwordx2 s[12:13], s[4:5], 0x40
	v_mov_b32_e32 v5, 0
	s_cbranch_execz .LBB26_8
	s_branch .LBB26_12
.LBB26_7:
	s_load_dwordx2 s[12:13], s[4:5], 0x40
	v_mov_b32_e32 v5, 0
.LBB26_8:
	s_load_dwordx4 s[0:3], s[4:5], 0x18
	s_load_dwordx2 s[16:17], s[4:5], 0x30
	v_mad_u64_u32 v[1:2], s[4:5], s18, 12, v[0:1]
	s_mul_i32 s4, s14, 12
	v_mov_b32_e32 v2, 0
	s_sub_i32 s7, s19, s14
	s_sub_i32 s9, s18, s14
	v_mul_u32_u24_e32 v6, 0x1556, v0
	v_subrev_u32_e32 v1, s4, v1
	v_mov_b32_e32 v5, v2
	s_branch .LBB26_10
.LBB26_9:                               ;   in Loop: Header=BB26_10 Depth=1
	s_or_b64 exec, exec, s[4:5]
	s_add_i32 s9, s9, 5
	s_cmp_ge_i32 s9, s7
	v_add_u32_e32 v1, 60, v1
	s_cbranch_scc1 .LBB26_12
.LBB26_10:                              ; =>This Inner Loop Header: Depth=1
	v_add_u32_sdwa v3, v6, s9 dst_sel:DWORD dst_unused:UNUSED_PAD src0_sel:WORD_1 src1_sel:DWORD
	v_cmp_gt_i32_e32 vcc, s7, v3
	s_and_saveexec_b64 s[4:5], vcc
	s_cbranch_execz .LBB26_9
; %bb.11:                               ;   in Loop: Header=BB26_10 Depth=1
	v_ashrrev_i32_e32 v4, 31, v3
	v_lshlrev_b64 v[3:4], 2, v[3:4]
	s_waitcnt lgkmcnt(0)
	v_mov_b32_e32 v7, s1
	v_add_co_u32_e32 v3, vcc, s0, v3
	v_addc_co_u32_e32 v4, vcc, v7, v4, vcc
	global_load_dword v7, v[3:4], off
	v_lshlrev_b64 v[3:4], 2, v[1:2]
	v_mov_b32_e32 v8, s3
	v_add_co_u32_e32 v3, vcc, s2, v3
	v_addc_co_u32_e32 v4, vcc, v8, v4, vcc
	global_load_dword v8, v[3:4], off
	v_mov_b32_e32 v9, s17
	s_waitcnt vmcnt(1)
	v_subrev_u32_e32 v3, s14, v7
	v_ashrrev_i32_e32 v4, 31, v3
	v_lshlrev_b64 v[3:4], 2, v[3:4]
	v_add_co_u32_e32 v3, vcc, s16, v3
	v_addc_co_u32_e32 v4, vcc, v9, v4, vcc
	global_load_dword v3, v[3:4], off
	s_waitcnt vmcnt(0)
	v_fmac_f32_e32 v5, v8, v3
	s_branch .LBB26_9
.LBB26_12:
	v_lshlrev_b32_e32 v1, 2, v0
	v_cmp_gt_u32_e32 vcc, 12, v0
	ds_write_b32 v1, v5
	s_waitcnt lgkmcnt(0)
	; wave barrier
	s_and_saveexec_b64 s[0:1], vcc
	s_cbranch_execz .LBB26_14
; %bb.13:
	ds_read2_b32 v[2:3], v1 offset1:48
	s_waitcnt lgkmcnt(0)
	v_add_f32_e32 v2, v3, v2
	ds_write_b32 v1, v2
.LBB26_14:
	s_or_b64 exec, exec, s[0:1]
	v_cmp_gt_u32_e64 s[0:1], 24, v0
	s_waitcnt lgkmcnt(0)
	; wave barrier
	s_and_saveexec_b64 s[2:3], s[0:1]
	s_cbranch_execz .LBB26_16
; %bb.15:
	ds_read2_b32 v[2:3], v1 offset1:24
	s_waitcnt lgkmcnt(0)
	v_add_f32_e32 v2, v3, v2
	ds_write_b32 v1, v2
.LBB26_16:
	s_or_b64 exec, exec, s[2:3]
	s_waitcnt lgkmcnt(0)
	; wave barrier
	s_and_saveexec_b64 s[0:1], vcc
	s_cbranch_execz .LBB26_18
; %bb.17:
	ds_read2_b32 v[2:3], v1 offset1:12
	s_waitcnt lgkmcnt(0)
	v_add_f32_e32 v2, v3, v2
	ds_write_b32 v1, v2
.LBB26_18:
	s_or_b64 exec, exec, s[0:1]
	s_waitcnt lgkmcnt(0)
	; wave barrier
	s_and_saveexec_b64 s[0:1], vcc
	s_cbranch_execz .LBB26_22
; %bb.19:
	ds_read_b32 v1, v1
	v_cmp_eq_f32_e64 s[0:1], s8, 0
	s_and_b64 vcc, exec, s[0:1]
	s_waitcnt lgkmcnt(0)
	v_mul_f32_e32 v1, s10, v1
	s_cbranch_vccz .LBB26_23
; %bb.20:
	v_mad_u64_u32 v[2:3], s[0:1], s6, 12, v[0:1]
	v_mov_b32_e32 v3, 0
	v_mov_b32_e32 v4, s13
	v_lshlrev_b64 v[2:3], 2, v[2:3]
	v_add_co_u32_e32 v2, vcc, s12, v2
	v_addc_co_u32_e32 v3, vcc, v4, v3, vcc
	global_store_dword v[2:3], v1, off
	s_cbranch_execnz .LBB26_22
.LBB26_21:
	v_mad_u64_u32 v[2:3], s[0:1], s6, 12, v[0:1]
	v_mov_b32_e32 v3, 0
	v_mov_b32_e32 v0, s13
	v_lshlrev_b64 v[2:3], 2, v[2:3]
	v_add_co_u32_e32 v2, vcc, s12, v2
	v_addc_co_u32_e32 v3, vcc, v0, v3, vcc
	global_load_dword v0, v[2:3], off
	s_waitcnt vmcnt(0)
	v_fmac_f32_e32 v1, s8, v0
	global_store_dword v[2:3], v1, off
.LBB26_22:
	s_endpgm
.LBB26_23:
	s_branch .LBB26_21
	.section	.rodata,"a",@progbits
	.p2align	6, 0x0
	.amdhsa_kernel _ZN9rocsparseL22gebsrmvn_mxn_16_kernelILj60ELj12ELj1EfEEvi20rocsparse_direction_NS_24const_host_device_scalarIT2_EEPKiS6_PKS3_iiS8_S4_PS3_21rocsparse_index_base_b
		.amdhsa_group_segment_fixed_size 240
		.amdhsa_private_segment_fixed_size 0
		.amdhsa_kernarg_size 80
		.amdhsa_user_sgpr_count 6
		.amdhsa_user_sgpr_private_segment_buffer 1
		.amdhsa_user_sgpr_dispatch_ptr 0
		.amdhsa_user_sgpr_queue_ptr 0
		.amdhsa_user_sgpr_kernarg_segment_ptr 1
		.amdhsa_user_sgpr_dispatch_id 0
		.amdhsa_user_sgpr_flat_scratch_init 0
		.amdhsa_user_sgpr_private_segment_size 0
		.amdhsa_uses_dynamic_stack 0
		.amdhsa_system_sgpr_private_segment_wavefront_offset 0
		.amdhsa_system_sgpr_workgroup_id_x 1
		.amdhsa_system_sgpr_workgroup_id_y 0
		.amdhsa_system_sgpr_workgroup_id_z 0
		.amdhsa_system_sgpr_workgroup_info 0
		.amdhsa_system_vgpr_workitem_id 0
		.amdhsa_next_free_vgpr 10
		.amdhsa_next_free_sgpr 20
		.amdhsa_reserve_vcc 1
		.amdhsa_reserve_flat_scratch 0
		.amdhsa_float_round_mode_32 0
		.amdhsa_float_round_mode_16_64 0
		.amdhsa_float_denorm_mode_32 3
		.amdhsa_float_denorm_mode_16_64 3
		.amdhsa_dx10_clamp 1
		.amdhsa_ieee_mode 1
		.amdhsa_fp16_overflow 0
		.amdhsa_exception_fp_ieee_invalid_op 0
		.amdhsa_exception_fp_denorm_src 0
		.amdhsa_exception_fp_ieee_div_zero 0
		.amdhsa_exception_fp_ieee_overflow 0
		.amdhsa_exception_fp_ieee_underflow 0
		.amdhsa_exception_fp_ieee_inexact 0
		.amdhsa_exception_int_div_zero 0
	.end_amdhsa_kernel
	.section	.text._ZN9rocsparseL22gebsrmvn_mxn_16_kernelILj60ELj12ELj1EfEEvi20rocsparse_direction_NS_24const_host_device_scalarIT2_EEPKiS6_PKS3_iiS8_S4_PS3_21rocsparse_index_base_b,"axG",@progbits,_ZN9rocsparseL22gebsrmvn_mxn_16_kernelILj60ELj12ELj1EfEEvi20rocsparse_direction_NS_24const_host_device_scalarIT2_EEPKiS6_PKS3_iiS8_S4_PS3_21rocsparse_index_base_b,comdat
.Lfunc_end26:
	.size	_ZN9rocsparseL22gebsrmvn_mxn_16_kernelILj60ELj12ELj1EfEEvi20rocsparse_direction_NS_24const_host_device_scalarIT2_EEPKiS6_PKS3_iiS8_S4_PS3_21rocsparse_index_base_b, .Lfunc_end26-_ZN9rocsparseL22gebsrmvn_mxn_16_kernelILj60ELj12ELj1EfEEvi20rocsparse_direction_NS_24const_host_device_scalarIT2_EEPKiS6_PKS3_iiS8_S4_PS3_21rocsparse_index_base_b
                                        ; -- End function
	.set _ZN9rocsparseL22gebsrmvn_mxn_16_kernelILj60ELj12ELj1EfEEvi20rocsparse_direction_NS_24const_host_device_scalarIT2_EEPKiS6_PKS3_iiS8_S4_PS3_21rocsparse_index_base_b.num_vgpr, 10
	.set _ZN9rocsparseL22gebsrmvn_mxn_16_kernelILj60ELj12ELj1EfEEvi20rocsparse_direction_NS_24const_host_device_scalarIT2_EEPKiS6_PKS3_iiS8_S4_PS3_21rocsparse_index_base_b.num_agpr, 0
	.set _ZN9rocsparseL22gebsrmvn_mxn_16_kernelILj60ELj12ELj1EfEEvi20rocsparse_direction_NS_24const_host_device_scalarIT2_EEPKiS6_PKS3_iiS8_S4_PS3_21rocsparse_index_base_b.numbered_sgpr, 20
	.set _ZN9rocsparseL22gebsrmvn_mxn_16_kernelILj60ELj12ELj1EfEEvi20rocsparse_direction_NS_24const_host_device_scalarIT2_EEPKiS6_PKS3_iiS8_S4_PS3_21rocsparse_index_base_b.num_named_barrier, 0
	.set _ZN9rocsparseL22gebsrmvn_mxn_16_kernelILj60ELj12ELj1EfEEvi20rocsparse_direction_NS_24const_host_device_scalarIT2_EEPKiS6_PKS3_iiS8_S4_PS3_21rocsparse_index_base_b.private_seg_size, 0
	.set _ZN9rocsparseL22gebsrmvn_mxn_16_kernelILj60ELj12ELj1EfEEvi20rocsparse_direction_NS_24const_host_device_scalarIT2_EEPKiS6_PKS3_iiS8_S4_PS3_21rocsparse_index_base_b.uses_vcc, 1
	.set _ZN9rocsparseL22gebsrmvn_mxn_16_kernelILj60ELj12ELj1EfEEvi20rocsparse_direction_NS_24const_host_device_scalarIT2_EEPKiS6_PKS3_iiS8_S4_PS3_21rocsparse_index_base_b.uses_flat_scratch, 0
	.set _ZN9rocsparseL22gebsrmvn_mxn_16_kernelILj60ELj12ELj1EfEEvi20rocsparse_direction_NS_24const_host_device_scalarIT2_EEPKiS6_PKS3_iiS8_S4_PS3_21rocsparse_index_base_b.has_dyn_sized_stack, 0
	.set _ZN9rocsparseL22gebsrmvn_mxn_16_kernelILj60ELj12ELj1EfEEvi20rocsparse_direction_NS_24const_host_device_scalarIT2_EEPKiS6_PKS3_iiS8_S4_PS3_21rocsparse_index_base_b.has_recursion, 0
	.set _ZN9rocsparseL22gebsrmvn_mxn_16_kernelILj60ELj12ELj1EfEEvi20rocsparse_direction_NS_24const_host_device_scalarIT2_EEPKiS6_PKS3_iiS8_S4_PS3_21rocsparse_index_base_b.has_indirect_call, 0
	.section	.AMDGPU.csdata,"",@progbits
; Kernel info:
; codeLenInByte = 696
; TotalNumSgprs: 24
; NumVgprs: 10
; ScratchSize: 0
; MemoryBound: 0
; FloatMode: 240
; IeeeMode: 1
; LDSByteSize: 240 bytes/workgroup (compile time only)
; SGPRBlocks: 2
; VGPRBlocks: 2
; NumSGPRsForWavesPerEU: 24
; NumVGPRsForWavesPerEU: 10
; Occupancy: 10
; WaveLimiterHint : 1
; COMPUTE_PGM_RSRC2:SCRATCH_EN: 0
; COMPUTE_PGM_RSRC2:USER_SGPR: 6
; COMPUTE_PGM_RSRC2:TRAP_HANDLER: 0
; COMPUTE_PGM_RSRC2:TGID_X_EN: 1
; COMPUTE_PGM_RSRC2:TGID_Y_EN: 0
; COMPUTE_PGM_RSRC2:TGID_Z_EN: 0
; COMPUTE_PGM_RSRC2:TIDIG_COMP_CNT: 0
	.section	.text._ZN9rocsparseL22gebsrmvn_mxn_16_kernelILj48ELj12ELj2EfEEvi20rocsparse_direction_NS_24const_host_device_scalarIT2_EEPKiS6_PKS3_iiS8_S4_PS3_21rocsparse_index_base_b,"axG",@progbits,_ZN9rocsparseL22gebsrmvn_mxn_16_kernelILj48ELj12ELj2EfEEvi20rocsparse_direction_NS_24const_host_device_scalarIT2_EEPKiS6_PKS3_iiS8_S4_PS3_21rocsparse_index_base_b,comdat
	.globl	_ZN9rocsparseL22gebsrmvn_mxn_16_kernelILj48ELj12ELj2EfEEvi20rocsparse_direction_NS_24const_host_device_scalarIT2_EEPKiS6_PKS3_iiS8_S4_PS3_21rocsparse_index_base_b ; -- Begin function _ZN9rocsparseL22gebsrmvn_mxn_16_kernelILj48ELj12ELj2EfEEvi20rocsparse_direction_NS_24const_host_device_scalarIT2_EEPKiS6_PKS3_iiS8_S4_PS3_21rocsparse_index_base_b
	.p2align	8
	.type	_ZN9rocsparseL22gebsrmvn_mxn_16_kernelILj48ELj12ELj2EfEEvi20rocsparse_direction_NS_24const_host_device_scalarIT2_EEPKiS6_PKS3_iiS8_S4_PS3_21rocsparse_index_base_b,@function
_ZN9rocsparseL22gebsrmvn_mxn_16_kernelILj48ELj12ELj2EfEEvi20rocsparse_direction_NS_24const_host_device_scalarIT2_EEPKiS6_PKS3_iiS8_S4_PS3_21rocsparse_index_base_b: ; @_ZN9rocsparseL22gebsrmvn_mxn_16_kernelILj48ELj12ELj2EfEEvi20rocsparse_direction_NS_24const_host_device_scalarIT2_EEPKiS6_PKS3_iiS8_S4_PS3_21rocsparse_index_base_b
; %bb.0:
	s_load_dwordx2 s[14:15], s[4:5], 0x48
	s_load_dwordx2 s[10:11], s[4:5], 0x8
	;; [unrolled: 1-line block ×3, first 2 shown]
	s_waitcnt lgkmcnt(0)
	s_bitcmp1_b32 s15, 0
	s_cselect_b64 s[2:3], -1, 0
	s_xor_b64 s[0:1], s[2:3], -1
	s_and_b64 vcc, exec, s[2:3]
	s_cbranch_vccnz .LBB27_2
; %bb.1:
	s_load_dword s10, s[10:11], 0x0
.LBB27_2:
	s_andn2_b64 vcc, exec, s[0:1]
	s_cbranch_vccnz .LBB27_4
; %bb.3:
	s_load_dword s8, s[8:9], 0x0
.LBB27_4:
	s_waitcnt lgkmcnt(0)
	v_cmp_eq_f32_e64 s[0:1], s10, 0
	v_cmp_eq_f32_e64 s[2:3], s8, 1.0
	s_and_b64 s[0:1], s[0:1], s[2:3]
	s_and_b64 vcc, exec, s[0:1]
	s_cbranch_vccnz .LBB27_30
; %bb.5:
	s_load_dword s2, s[4:5], 0x4
	s_load_dwordx2 s[0:1], s[4:5], 0x10
	v_and_b32_e32 v6, 1, v0
	v_mov_b32_e32 v7, v6
	s_waitcnt lgkmcnt(0)
	s_cmp_lg_u32 s2, 1
	s_cselect_b64 s[16:17], -1, 0
	s_and_b64 vcc, exec, s[16:17]
	s_cbranch_vccnz .LBB27_7
; %bb.6:
	v_mul_u32_u24_e32 v1, 0x1556, v0
	v_bfe_u32 v7, v1, 16, 1
.LBB27_7:
	s_ashr_i32 s7, s6, 31
	s_lshl_b64 s[2:3], s[6:7], 2
	s_add_u32 s0, s0, s2
	s_addc_u32 s1, s1, s3
	s_load_dwordx2 s[20:21], s[0:1], 0x0
	s_load_dwordx2 s[12:13], s[4:5], 0x40
	v_mov_b32_e32 v5, 0
	s_waitcnt lgkmcnt(0)
	s_cmp_ge_i32 s20, s21
	s_cbranch_scc1 .LBB27_12
; %bb.8:
	s_load_dwordx4 s[0:3], s[4:5], 0x18
	s_load_dwordx2 s[18:19], s[4:5], 0x30
	v_mad_u64_u32 v[1:2], s[4:5], s20, 24, v[0:1]
	s_mul_i32 s4, s14, 24
	v_mov_b32_e32 v2, 0
	s_sub_i32 s7, s21, s14
	s_sub_i32 s9, s20, s14
	v_mul_u32_u24_e32 v8, 0xaab, v0
	v_subrev_u32_e32 v1, s4, v1
	v_mov_b32_e32 v5, v2
	s_branch .LBB27_10
.LBB27_9:                               ;   in Loop: Header=BB27_10 Depth=1
	s_or_b64 exec, exec, s[4:5]
	s_add_i32 s9, s9, 2
	s_cmp_ge_i32 s9, s7
	v_add_u32_e32 v1, 48, v1
	s_cbranch_scc1 .LBB27_12
.LBB27_10:                              ; =>This Inner Loop Header: Depth=1
	v_add_u32_sdwa v3, v8, s9 dst_sel:DWORD dst_unused:UNUSED_PAD src0_sel:WORD_1 src1_sel:DWORD
	v_cmp_gt_i32_e32 vcc, s7, v3
	s_and_saveexec_b64 s[4:5], vcc
	s_cbranch_execz .LBB27_9
; %bb.11:                               ;   in Loop: Header=BB27_10 Depth=1
	v_ashrrev_i32_e32 v4, 31, v3
	v_lshlrev_b64 v[3:4], 2, v[3:4]
	s_waitcnt lgkmcnt(0)
	v_mov_b32_e32 v9, s1
	v_add_co_u32_e32 v3, vcc, s0, v3
	v_addc_co_u32_e32 v4, vcc, v9, v4, vcc
	global_load_dword v9, v[3:4], off
	v_lshlrev_b64 v[3:4], 2, v[1:2]
	v_mov_b32_e32 v10, s3
	v_add_co_u32_e32 v3, vcc, s2, v3
	v_addc_co_u32_e32 v4, vcc, v10, v4, vcc
	global_load_dword v10, v[3:4], off
	v_mov_b32_e32 v11, s19
	s_waitcnt vmcnt(1)
	v_subrev_u32_e32 v3, s14, v9
	v_lshl_or_b32 v3, v3, 1, v7
	v_ashrrev_i32_e32 v4, 31, v3
	v_lshlrev_b64 v[3:4], 2, v[3:4]
	v_add_co_u32_e32 v3, vcc, s18, v3
	v_addc_co_u32_e32 v4, vcc, v11, v4, vcc
	global_load_dword v3, v[3:4], off
	s_waitcnt vmcnt(0)
	v_fmac_f32_e32 v5, v10, v3
	s_branch .LBB27_9
.LBB27_12:
	v_lshlrev_b32_e32 v1, 2, v0
	v_cmp_gt_u32_e32 vcc, 24, v0
	ds_write_b32 v1, v5
	s_waitcnt lgkmcnt(0)
	; wave barrier
	s_and_saveexec_b64 s[0:1], vcc
	s_cbranch_execz .LBB27_14
; %bb.13:
	ds_read2_b32 v[2:3], v1 offset1:24
	s_waitcnt lgkmcnt(0)
	v_add_f32_e32 v2, v3, v2
	ds_write_b32 v1, v2
.LBB27_14:
	s_or_b64 exec, exec, s[0:1]
	s_and_b64 vcc, exec, s[16:17]
	s_waitcnt lgkmcnt(0)
	; wave barrier
	s_cbranch_vccz .LBB27_20
; %bb.15:
	v_cmp_eq_u32_e32 vcc, 0, v6
	s_and_saveexec_b64 s[0:1], vcc
	s_cbranch_execz .LBB27_17
; %bb.16:
	ds_read2_b32 v[2:3], v1 offset1:1
	s_waitcnt lgkmcnt(0)
	v_add_f32_e32 v2, v3, v2
	ds_write_b32 v1, v2
.LBB27_17:
	s_or_b64 exec, exec, s[0:1]
	v_cmp_gt_u32_e32 vcc, 12, v0
	v_mov_b32_e32 v2, v5
	s_waitcnt lgkmcnt(0)
	; wave barrier
	s_and_saveexec_b64 s[0:1], vcc
; %bb.18:
	v_lshl_add_u32 v2, v0, 2, v1
	ds_read_b32 v2, v2
; %bb.19:
	s_or_b64 exec, exec, s[0:1]
	s_branch .LBB27_26
.LBB27_20:
                                        ; implicit-def: $vgpr2
	s_cbranch_execz .LBB27_26
; %bb.21:
	v_cmp_lt_u32_e32 vcc, 11, v0
	s_and_saveexec_b64 s[0:1], vcc
	s_xor_b64 s[0:1], exec, s[0:1]
	s_cbranch_execz .LBB27_23
; %bb.22:
	s_waitcnt lgkmcnt(0)
                                        ; implicit-def: $vgpr1
.LBB27_23:
	s_andn2_saveexec_b64 s[0:1], s[0:1]
	s_cbranch_execz .LBB27_25
; %bb.24:
	s_waitcnt lgkmcnt(0)
	ds_read2_b32 v[2:3], v1 offset1:12
	s_waitcnt lgkmcnt(0)
	v_add_f32_e32 v2, v3, v2
	ds_write_b32 v1, v2
	s_waitcnt lgkmcnt(0)
	ds_read_b32 v5, v1
.LBB27_25:
	s_or_b64 exec, exec, s[0:1]
	s_waitcnt lgkmcnt(0)
	v_mov_b32_e32 v2, v5
.LBB27_26:
	v_cmp_gt_u32_e32 vcc, 12, v0
	s_and_saveexec_b64 s[0:1], vcc
	s_cbranch_execz .LBB27_30
; %bb.27:
	v_cmp_eq_f32_e64 s[0:1], s8, 0
	s_and_b64 vcc, exec, s[0:1]
	s_waitcnt lgkmcnt(0)
	v_mul_f32_e32 v1, s10, v2
	s_cbranch_vccz .LBB27_31
; %bb.28:
	v_mad_u64_u32 v[2:3], s[0:1], s6, 12, v[0:1]
	v_mov_b32_e32 v3, 0
	v_mov_b32_e32 v4, s13
	v_lshlrev_b64 v[2:3], 2, v[2:3]
	v_add_co_u32_e32 v2, vcc, s12, v2
	v_addc_co_u32_e32 v3, vcc, v4, v3, vcc
	global_store_dword v[2:3], v1, off
	s_cbranch_execnz .LBB27_30
.LBB27_29:
	v_mad_u64_u32 v[2:3], s[0:1], s6, 12, v[0:1]
	v_mov_b32_e32 v3, 0
	v_mov_b32_e32 v0, s13
	v_lshlrev_b64 v[2:3], 2, v[2:3]
	v_add_co_u32_e32 v2, vcc, s12, v2
	v_addc_co_u32_e32 v3, vcc, v0, v3, vcc
	global_load_dword v0, v[2:3], off
	s_waitcnt vmcnt(0)
	v_fmac_f32_e32 v1, s8, v0
	global_store_dword v[2:3], v1, off
.LBB27_30:
	s_endpgm
.LBB27_31:
	s_branch .LBB27_29
	.section	.rodata,"a",@progbits
	.p2align	6, 0x0
	.amdhsa_kernel _ZN9rocsparseL22gebsrmvn_mxn_16_kernelILj48ELj12ELj2EfEEvi20rocsparse_direction_NS_24const_host_device_scalarIT2_EEPKiS6_PKS3_iiS8_S4_PS3_21rocsparse_index_base_b
		.amdhsa_group_segment_fixed_size 192
		.amdhsa_private_segment_fixed_size 0
		.amdhsa_kernarg_size 80
		.amdhsa_user_sgpr_count 6
		.amdhsa_user_sgpr_private_segment_buffer 1
		.amdhsa_user_sgpr_dispatch_ptr 0
		.amdhsa_user_sgpr_queue_ptr 0
		.amdhsa_user_sgpr_kernarg_segment_ptr 1
		.amdhsa_user_sgpr_dispatch_id 0
		.amdhsa_user_sgpr_flat_scratch_init 0
		.amdhsa_user_sgpr_private_segment_size 0
		.amdhsa_uses_dynamic_stack 0
		.amdhsa_system_sgpr_private_segment_wavefront_offset 0
		.amdhsa_system_sgpr_workgroup_id_x 1
		.amdhsa_system_sgpr_workgroup_id_y 0
		.amdhsa_system_sgpr_workgroup_id_z 0
		.amdhsa_system_sgpr_workgroup_info 0
		.amdhsa_system_vgpr_workitem_id 0
		.amdhsa_next_free_vgpr 12
		.amdhsa_next_free_sgpr 22
		.amdhsa_reserve_vcc 1
		.amdhsa_reserve_flat_scratch 0
		.amdhsa_float_round_mode_32 0
		.amdhsa_float_round_mode_16_64 0
		.amdhsa_float_denorm_mode_32 3
		.amdhsa_float_denorm_mode_16_64 3
		.amdhsa_dx10_clamp 1
		.amdhsa_ieee_mode 1
		.amdhsa_fp16_overflow 0
		.amdhsa_exception_fp_ieee_invalid_op 0
		.amdhsa_exception_fp_denorm_src 0
		.amdhsa_exception_fp_ieee_div_zero 0
		.amdhsa_exception_fp_ieee_overflow 0
		.amdhsa_exception_fp_ieee_underflow 0
		.amdhsa_exception_fp_ieee_inexact 0
		.amdhsa_exception_int_div_zero 0
	.end_amdhsa_kernel
	.section	.text._ZN9rocsparseL22gebsrmvn_mxn_16_kernelILj48ELj12ELj2EfEEvi20rocsparse_direction_NS_24const_host_device_scalarIT2_EEPKiS6_PKS3_iiS8_S4_PS3_21rocsparse_index_base_b,"axG",@progbits,_ZN9rocsparseL22gebsrmvn_mxn_16_kernelILj48ELj12ELj2EfEEvi20rocsparse_direction_NS_24const_host_device_scalarIT2_EEPKiS6_PKS3_iiS8_S4_PS3_21rocsparse_index_base_b,comdat
.Lfunc_end27:
	.size	_ZN9rocsparseL22gebsrmvn_mxn_16_kernelILj48ELj12ELj2EfEEvi20rocsparse_direction_NS_24const_host_device_scalarIT2_EEPKiS6_PKS3_iiS8_S4_PS3_21rocsparse_index_base_b, .Lfunc_end27-_ZN9rocsparseL22gebsrmvn_mxn_16_kernelILj48ELj12ELj2EfEEvi20rocsparse_direction_NS_24const_host_device_scalarIT2_EEPKiS6_PKS3_iiS8_S4_PS3_21rocsparse_index_base_b
                                        ; -- End function
	.set _ZN9rocsparseL22gebsrmvn_mxn_16_kernelILj48ELj12ELj2EfEEvi20rocsparse_direction_NS_24const_host_device_scalarIT2_EEPKiS6_PKS3_iiS8_S4_PS3_21rocsparse_index_base_b.num_vgpr, 12
	.set _ZN9rocsparseL22gebsrmvn_mxn_16_kernelILj48ELj12ELj2EfEEvi20rocsparse_direction_NS_24const_host_device_scalarIT2_EEPKiS6_PKS3_iiS8_S4_PS3_21rocsparse_index_base_b.num_agpr, 0
	.set _ZN9rocsparseL22gebsrmvn_mxn_16_kernelILj48ELj12ELj2EfEEvi20rocsparse_direction_NS_24const_host_device_scalarIT2_EEPKiS6_PKS3_iiS8_S4_PS3_21rocsparse_index_base_b.numbered_sgpr, 22
	.set _ZN9rocsparseL22gebsrmvn_mxn_16_kernelILj48ELj12ELj2EfEEvi20rocsparse_direction_NS_24const_host_device_scalarIT2_EEPKiS6_PKS3_iiS8_S4_PS3_21rocsparse_index_base_b.num_named_barrier, 0
	.set _ZN9rocsparseL22gebsrmvn_mxn_16_kernelILj48ELj12ELj2EfEEvi20rocsparse_direction_NS_24const_host_device_scalarIT2_EEPKiS6_PKS3_iiS8_S4_PS3_21rocsparse_index_base_b.private_seg_size, 0
	.set _ZN9rocsparseL22gebsrmvn_mxn_16_kernelILj48ELj12ELj2EfEEvi20rocsparse_direction_NS_24const_host_device_scalarIT2_EEPKiS6_PKS3_iiS8_S4_PS3_21rocsparse_index_base_b.uses_vcc, 1
	.set _ZN9rocsparseL22gebsrmvn_mxn_16_kernelILj48ELj12ELj2EfEEvi20rocsparse_direction_NS_24const_host_device_scalarIT2_EEPKiS6_PKS3_iiS8_S4_PS3_21rocsparse_index_base_b.uses_flat_scratch, 0
	.set _ZN9rocsparseL22gebsrmvn_mxn_16_kernelILj48ELj12ELj2EfEEvi20rocsparse_direction_NS_24const_host_device_scalarIT2_EEPKiS6_PKS3_iiS8_S4_PS3_21rocsparse_index_base_b.has_dyn_sized_stack, 0
	.set _ZN9rocsparseL22gebsrmvn_mxn_16_kernelILj48ELj12ELj2EfEEvi20rocsparse_direction_NS_24const_host_device_scalarIT2_EEPKiS6_PKS3_iiS8_S4_PS3_21rocsparse_index_base_b.has_recursion, 0
	.set _ZN9rocsparseL22gebsrmvn_mxn_16_kernelILj48ELj12ELj2EfEEvi20rocsparse_direction_NS_24const_host_device_scalarIT2_EEPKiS6_PKS3_iiS8_S4_PS3_21rocsparse_index_base_b.has_indirect_call, 0
	.section	.AMDGPU.csdata,"",@progbits
; Kernel info:
; codeLenInByte = 812
; TotalNumSgprs: 26
; NumVgprs: 12
; ScratchSize: 0
; MemoryBound: 0
; FloatMode: 240
; IeeeMode: 1
; LDSByteSize: 192 bytes/workgroup (compile time only)
; SGPRBlocks: 3
; VGPRBlocks: 2
; NumSGPRsForWavesPerEU: 26
; NumVGPRsForWavesPerEU: 12
; Occupancy: 10
; WaveLimiterHint : 1
; COMPUTE_PGM_RSRC2:SCRATCH_EN: 0
; COMPUTE_PGM_RSRC2:USER_SGPR: 6
; COMPUTE_PGM_RSRC2:TRAP_HANDLER: 0
; COMPUTE_PGM_RSRC2:TGID_X_EN: 1
; COMPUTE_PGM_RSRC2:TGID_Y_EN: 0
; COMPUTE_PGM_RSRC2:TGID_Z_EN: 0
; COMPUTE_PGM_RSRC2:TIDIG_COMP_CNT: 0
	.section	.text._ZN9rocsparseL22gebsrmvn_mxn_16_kernelILj48ELj12ELj3EfEEvi20rocsparse_direction_NS_24const_host_device_scalarIT2_EEPKiS6_PKS3_iiS8_S4_PS3_21rocsparse_index_base_b,"axG",@progbits,_ZN9rocsparseL22gebsrmvn_mxn_16_kernelILj48ELj12ELj3EfEEvi20rocsparse_direction_NS_24const_host_device_scalarIT2_EEPKiS6_PKS3_iiS8_S4_PS3_21rocsparse_index_base_b,comdat
	.globl	_ZN9rocsparseL22gebsrmvn_mxn_16_kernelILj48ELj12ELj3EfEEvi20rocsparse_direction_NS_24const_host_device_scalarIT2_EEPKiS6_PKS3_iiS8_S4_PS3_21rocsparse_index_base_b ; -- Begin function _ZN9rocsparseL22gebsrmvn_mxn_16_kernelILj48ELj12ELj3EfEEvi20rocsparse_direction_NS_24const_host_device_scalarIT2_EEPKiS6_PKS3_iiS8_S4_PS3_21rocsparse_index_base_b
	.p2align	8
	.type	_ZN9rocsparseL22gebsrmvn_mxn_16_kernelILj48ELj12ELj3EfEEvi20rocsparse_direction_NS_24const_host_device_scalarIT2_EEPKiS6_PKS3_iiS8_S4_PS3_21rocsparse_index_base_b,@function
_ZN9rocsparseL22gebsrmvn_mxn_16_kernelILj48ELj12ELj3EfEEvi20rocsparse_direction_NS_24const_host_device_scalarIT2_EEPKiS6_PKS3_iiS8_S4_PS3_21rocsparse_index_base_b: ; @_ZN9rocsparseL22gebsrmvn_mxn_16_kernelILj48ELj12ELj3EfEEvi20rocsparse_direction_NS_24const_host_device_scalarIT2_EEPKiS6_PKS3_iiS8_S4_PS3_21rocsparse_index_base_b
; %bb.0:
	s_load_dwordx2 s[14:15], s[4:5], 0x48
	s_load_dwordx2 s[10:11], s[4:5], 0x8
	;; [unrolled: 1-line block ×3, first 2 shown]
	s_waitcnt lgkmcnt(0)
	s_bitcmp1_b32 s15, 0
	s_cselect_b64 s[2:3], -1, 0
	s_xor_b64 s[0:1], s[2:3], -1
	s_and_b64 vcc, exec, s[2:3]
	s_cbranch_vccnz .LBB28_2
; %bb.1:
	s_load_dword s10, s[10:11], 0x0
.LBB28_2:
	s_andn2_b64 vcc, exec, s[0:1]
	s_cbranch_vccnz .LBB28_4
; %bb.3:
	s_load_dword s8, s[8:9], 0x0
.LBB28_4:
	s_waitcnt lgkmcnt(0)
	v_cmp_eq_f32_e64 s[0:1], s10, 0
	v_cmp_eq_f32_e64 s[2:3], s8, 1.0
	s_and_b64 s[0:1], s[0:1], s[2:3]
	s_and_b64 vcc, exec, s[0:1]
	s_cbranch_vccnz .LBB28_32
; %bb.5:
	s_load_dwordx2 s[0:1], s[4:5], 0x10
	s_load_dword s2, s[4:5], 0x4
	v_mul_u32_u24_e32 v1, 0x5556, v0
	v_mov_b32_e32 v2, 3
	v_mul_lo_u16_sdwa v1, v1, v2 dst_sel:DWORD dst_unused:UNUSED_PAD src0_sel:WORD_1 src1_sel:DWORD
	v_sub_u16_e32 v7, v0, v1
	s_waitcnt lgkmcnt(0)
	s_cmp_lg_u32 s2, 1
	s_cselect_b64 s[16:17], -1, 0
	s_and_b64 vcc, exec, s[16:17]
	v_mov_b32_e32 v1, v7
	s_cbranch_vccnz .LBB28_7
; %bb.6:
	s_movk_i32 s2, 0x1556
	v_mul_u32_u24_sdwa v1, v0, s2 dst_sel:DWORD dst_unused:UNUSED_PAD src0_sel:WORD_0 src1_sel:DWORD
	s_movk_i32 s2, 0x56
	v_mul_lo_u16_sdwa v3, v1, s2 dst_sel:DWORD dst_unused:UNUSED_PAD src0_sel:WORD_1 src1_sel:DWORD
	v_mul_lo_u16_sdwa v2, v3, v2 dst_sel:DWORD dst_unused:UNUSED_PAD src0_sel:BYTE_1 src1_sel:DWORD
	v_sub_u16_sdwa v1, v1, v2 dst_sel:DWORD dst_unused:UNUSED_PAD src0_sel:WORD_1 src1_sel:DWORD
	v_and_b32_e32 v1, 0xff, v1
.LBB28_7:
	s_ashr_i32 s7, s6, 31
	s_lshl_b64 s[2:3], s[6:7], 2
	s_add_u32 s0, s0, s2
	s_addc_u32 s1, s1, s3
	s_load_dwordx2 s[20:21], s[0:1], 0x0
	s_load_dwordx2 s[12:13], s[4:5], 0x40
	v_mov_b32_e32 v6, 0
	s_waitcnt lgkmcnt(0)
	s_cmp_ge_i32 s20, s21
	s_cbranch_scc1 .LBB28_12
; %bb.8:
	s_load_dwordx4 s[0:3], s[4:5], 0x18
	s_load_dwordx2 s[18:19], s[4:5], 0x30
	v_mad_u64_u32 v[2:3], s[4:5], s20, 36, v[0:1]
	s_movk_i32 s4, 0x71d
	v_mul_u32_u24_sdwa v8, v0, s4 dst_sel:DWORD dst_unused:UNUSED_PAD src0_sel:WORD_0 src1_sel:DWORD
	s_mul_i32 s4, s14, 36
	v_mov_b32_e32 v3, 0
	s_sub_i32 s7, s21, s14
	s_sub_i32 s9, s20, s14
	v_subrev_u32_e32 v2, s4, v2
	v_mov_b32_e32 v6, v3
	s_branch .LBB28_10
.LBB28_9:                               ;   in Loop: Header=BB28_10 Depth=1
	s_or_b64 exec, exec, s[4:5]
	s_add_i32 s9, s9, 1
	s_cmp_ge_i32 s9, s7
	v_add_u32_e32 v2, 36, v2
	s_cbranch_scc1 .LBB28_12
.LBB28_10:                              ; =>This Inner Loop Header: Depth=1
	v_add_u32_sdwa v4, v8, s9 dst_sel:DWORD dst_unused:UNUSED_PAD src0_sel:WORD_1 src1_sel:DWORD
	v_cmp_gt_i32_e32 vcc, s7, v4
	s_and_saveexec_b64 s[4:5], vcc
	s_cbranch_execz .LBB28_9
; %bb.11:                               ;   in Loop: Header=BB28_10 Depth=1
	v_ashrrev_i32_e32 v5, 31, v4
	v_lshlrev_b64 v[4:5], 2, v[4:5]
	s_waitcnt lgkmcnt(0)
	v_mov_b32_e32 v9, s1
	v_add_co_u32_e32 v4, vcc, s0, v4
	v_addc_co_u32_e32 v5, vcc, v9, v5, vcc
	global_load_dword v9, v[4:5], off
	v_lshlrev_b64 v[4:5], 2, v[2:3]
	v_mov_b32_e32 v11, s3
	v_add_co_u32_e32 v4, vcc, s2, v4
	v_addc_co_u32_e32 v5, vcc, v11, v5, vcc
	global_load_dword v11, v[4:5], off
	v_mov_b32_e32 v12, s19
	s_waitcnt vmcnt(1)
	v_subrev_u32_e32 v9, s14, v9
	v_mad_u64_u32 v[9:10], s[20:21], v9, 3, v[1:2]
	v_ashrrev_i32_e32 v10, 31, v9
	v_lshlrev_b64 v[4:5], 2, v[9:10]
	v_add_co_u32_e32 v4, vcc, s18, v4
	v_addc_co_u32_e32 v5, vcc, v12, v5, vcc
	global_load_dword v4, v[4:5], off
	s_waitcnt vmcnt(0)
	v_fmac_f32_e32 v6, v11, v4
	s_branch .LBB28_9
.LBB28_12:
	v_lshlrev_b32_e32 v1, 2, v0
	s_and_b64 vcc, exec, s[16:17]
	ds_write_b32 v1, v6
	s_waitcnt lgkmcnt(0)
	; wave barrier
	s_cbranch_vccz .LBB28_20
; %bb.13:
	v_cmp_eq_u16_e32 vcc, 0, v7
	s_and_saveexec_b64 s[0:1], vcc
	s_cbranch_execz .LBB28_15
; %bb.14:
	ds_read2_b32 v[2:3], v1 offset1:2
	s_waitcnt lgkmcnt(0)
	v_add_f32_e32 v2, v3, v2
	ds_write_b32 v1, v2
.LBB28_15:
	s_or_b64 exec, exec, s[0:1]
	s_waitcnt lgkmcnt(0)
	; wave barrier
	s_and_saveexec_b64 s[0:1], vcc
	s_cbranch_execz .LBB28_17
; %bb.16:
	ds_read2_b32 v[2:3], v1 offset1:1
	s_waitcnt lgkmcnt(0)
	v_add_f32_e32 v2, v3, v2
	ds_write_b32 v1, v2
.LBB28_17:
	s_or_b64 exec, exec, s[0:1]
	v_cmp_gt_u32_e32 vcc, 12, v0
	v_mov_b32_e32 v2, v6
	s_waitcnt lgkmcnt(0)
	; wave barrier
	s_and_saveexec_b64 s[0:1], vcc
; %bb.18:
	v_lshl_add_u32 v2, v0, 3, v1
	ds_read_b32 v2, v2
; %bb.19:
	s_or_b64 exec, exec, s[0:1]
	v_cmp_gt_u32_e64 s[0:1], 12, v0
	s_branch .LBB28_28
.LBB28_20:
                                        ; implicit-def: $vgpr2
	v_cmp_gt_u32_e64 s[0:1], 12, v0
	s_cbranch_execz .LBB28_28
; %bb.21:
	v_cmp_lt_u32_e32 vcc, 11, v0
	s_and_saveexec_b64 s[2:3], s[0:1]
	s_cbranch_execz .LBB28_23
; %bb.22:
	s_waitcnt lgkmcnt(0)
	ds_read2_b32 v[2:3], v1 offset1:24
	s_waitcnt lgkmcnt(0)
	v_add_f32_e32 v2, v3, v2
	ds_write_b32 v1, v2
.LBB28_23:
	s_or_b64 exec, exec, s[2:3]
	s_waitcnt lgkmcnt(0)
	; wave barrier
	s_and_saveexec_b64 s[0:1], vcc
	s_xor_b64 s[0:1], exec, s[0:1]
; %bb.24:
                                        ; implicit-def: $vgpr1
; %bb.25:
	s_andn2_saveexec_b64 s[0:1], s[0:1]
	s_cbranch_execz .LBB28_27
; %bb.26:
	ds_read2_b32 v[2:3], v1 offset1:12
	s_waitcnt lgkmcnt(0)
	v_add_f32_e32 v2, v3, v2
	ds_write_b32 v1, v2
	s_waitcnt lgkmcnt(0)
	ds_read_b32 v6, v1
.LBB28_27:
	s_or_b64 exec, exec, s[0:1]
	s_waitcnt lgkmcnt(0)
	v_mov_b32_e32 v2, v6
.LBB28_28:
	v_cmp_gt_u32_e32 vcc, 12, v0
	s_and_saveexec_b64 s[0:1], vcc
	s_cbranch_execz .LBB28_32
; %bb.29:
	v_cmp_eq_f32_e64 s[0:1], s8, 0
	s_and_b64 vcc, exec, s[0:1]
	s_waitcnt lgkmcnt(0)
	v_mul_f32_e32 v1, s10, v2
	s_cbranch_vccz .LBB28_33
; %bb.30:
	v_mad_u64_u32 v[2:3], s[0:1], s6, 12, v[0:1]
	v_mov_b32_e32 v3, 0
	v_mov_b32_e32 v4, s13
	v_lshlrev_b64 v[2:3], 2, v[2:3]
	v_add_co_u32_e32 v2, vcc, s12, v2
	v_addc_co_u32_e32 v3, vcc, v4, v3, vcc
	global_store_dword v[2:3], v1, off
	s_cbranch_execnz .LBB28_32
.LBB28_31:
	v_mad_u64_u32 v[2:3], s[0:1], s6, 12, v[0:1]
	v_mov_b32_e32 v3, 0
	v_mov_b32_e32 v0, s13
	v_lshlrev_b64 v[2:3], 2, v[2:3]
	v_add_co_u32_e32 v2, vcc, s12, v2
	v_addc_co_u32_e32 v3, vcc, v0, v3, vcc
	global_load_dword v0, v[2:3], off
	s_waitcnt vmcnt(0)
	v_fmac_f32_e32 v1, s8, v0
	global_store_dword v[2:3], v1, off
.LBB28_32:
	s_endpgm
.LBB28_33:
	s_branch .LBB28_31
	.section	.rodata,"a",@progbits
	.p2align	6, 0x0
	.amdhsa_kernel _ZN9rocsparseL22gebsrmvn_mxn_16_kernelILj48ELj12ELj3EfEEvi20rocsparse_direction_NS_24const_host_device_scalarIT2_EEPKiS6_PKS3_iiS8_S4_PS3_21rocsparse_index_base_b
		.amdhsa_group_segment_fixed_size 144
		.amdhsa_private_segment_fixed_size 0
		.amdhsa_kernarg_size 80
		.amdhsa_user_sgpr_count 6
		.amdhsa_user_sgpr_private_segment_buffer 1
		.amdhsa_user_sgpr_dispatch_ptr 0
		.amdhsa_user_sgpr_queue_ptr 0
		.amdhsa_user_sgpr_kernarg_segment_ptr 1
		.amdhsa_user_sgpr_dispatch_id 0
		.amdhsa_user_sgpr_flat_scratch_init 0
		.amdhsa_user_sgpr_private_segment_size 0
		.amdhsa_uses_dynamic_stack 0
		.amdhsa_system_sgpr_private_segment_wavefront_offset 0
		.amdhsa_system_sgpr_workgroup_id_x 1
		.amdhsa_system_sgpr_workgroup_id_y 0
		.amdhsa_system_sgpr_workgroup_id_z 0
		.amdhsa_system_sgpr_workgroup_info 0
		.amdhsa_system_vgpr_workitem_id 0
		.amdhsa_next_free_vgpr 13
		.amdhsa_next_free_sgpr 22
		.amdhsa_reserve_vcc 1
		.amdhsa_reserve_flat_scratch 0
		.amdhsa_float_round_mode_32 0
		.amdhsa_float_round_mode_16_64 0
		.amdhsa_float_denorm_mode_32 3
		.amdhsa_float_denorm_mode_16_64 3
		.amdhsa_dx10_clamp 1
		.amdhsa_ieee_mode 1
		.amdhsa_fp16_overflow 0
		.amdhsa_exception_fp_ieee_invalid_op 0
		.amdhsa_exception_fp_denorm_src 0
		.amdhsa_exception_fp_ieee_div_zero 0
		.amdhsa_exception_fp_ieee_overflow 0
		.amdhsa_exception_fp_ieee_underflow 0
		.amdhsa_exception_fp_ieee_inexact 0
		.amdhsa_exception_int_div_zero 0
	.end_amdhsa_kernel
	.section	.text._ZN9rocsparseL22gebsrmvn_mxn_16_kernelILj48ELj12ELj3EfEEvi20rocsparse_direction_NS_24const_host_device_scalarIT2_EEPKiS6_PKS3_iiS8_S4_PS3_21rocsparse_index_base_b,"axG",@progbits,_ZN9rocsparseL22gebsrmvn_mxn_16_kernelILj48ELj12ELj3EfEEvi20rocsparse_direction_NS_24const_host_device_scalarIT2_EEPKiS6_PKS3_iiS8_S4_PS3_21rocsparse_index_base_b,comdat
.Lfunc_end28:
	.size	_ZN9rocsparseL22gebsrmvn_mxn_16_kernelILj48ELj12ELj3EfEEvi20rocsparse_direction_NS_24const_host_device_scalarIT2_EEPKiS6_PKS3_iiS8_S4_PS3_21rocsparse_index_base_b, .Lfunc_end28-_ZN9rocsparseL22gebsrmvn_mxn_16_kernelILj48ELj12ELj3EfEEvi20rocsparse_direction_NS_24const_host_device_scalarIT2_EEPKiS6_PKS3_iiS8_S4_PS3_21rocsparse_index_base_b
                                        ; -- End function
	.set _ZN9rocsparseL22gebsrmvn_mxn_16_kernelILj48ELj12ELj3EfEEvi20rocsparse_direction_NS_24const_host_device_scalarIT2_EEPKiS6_PKS3_iiS8_S4_PS3_21rocsparse_index_base_b.num_vgpr, 13
	.set _ZN9rocsparseL22gebsrmvn_mxn_16_kernelILj48ELj12ELj3EfEEvi20rocsparse_direction_NS_24const_host_device_scalarIT2_EEPKiS6_PKS3_iiS8_S4_PS3_21rocsparse_index_base_b.num_agpr, 0
	.set _ZN9rocsparseL22gebsrmvn_mxn_16_kernelILj48ELj12ELj3EfEEvi20rocsparse_direction_NS_24const_host_device_scalarIT2_EEPKiS6_PKS3_iiS8_S4_PS3_21rocsparse_index_base_b.numbered_sgpr, 22
	.set _ZN9rocsparseL22gebsrmvn_mxn_16_kernelILj48ELj12ELj3EfEEvi20rocsparse_direction_NS_24const_host_device_scalarIT2_EEPKiS6_PKS3_iiS8_S4_PS3_21rocsparse_index_base_b.num_named_barrier, 0
	.set _ZN9rocsparseL22gebsrmvn_mxn_16_kernelILj48ELj12ELj3EfEEvi20rocsparse_direction_NS_24const_host_device_scalarIT2_EEPKiS6_PKS3_iiS8_S4_PS3_21rocsparse_index_base_b.private_seg_size, 0
	.set _ZN9rocsparseL22gebsrmvn_mxn_16_kernelILj48ELj12ELj3EfEEvi20rocsparse_direction_NS_24const_host_device_scalarIT2_EEPKiS6_PKS3_iiS8_S4_PS3_21rocsparse_index_base_b.uses_vcc, 1
	.set _ZN9rocsparseL22gebsrmvn_mxn_16_kernelILj48ELj12ELj3EfEEvi20rocsparse_direction_NS_24const_host_device_scalarIT2_EEPKiS6_PKS3_iiS8_S4_PS3_21rocsparse_index_base_b.uses_flat_scratch, 0
	.set _ZN9rocsparseL22gebsrmvn_mxn_16_kernelILj48ELj12ELj3EfEEvi20rocsparse_direction_NS_24const_host_device_scalarIT2_EEPKiS6_PKS3_iiS8_S4_PS3_21rocsparse_index_base_b.has_dyn_sized_stack, 0
	.set _ZN9rocsparseL22gebsrmvn_mxn_16_kernelILj48ELj12ELj3EfEEvi20rocsparse_direction_NS_24const_host_device_scalarIT2_EEPKiS6_PKS3_iiS8_S4_PS3_21rocsparse_index_base_b.has_recursion, 0
	.set _ZN9rocsparseL22gebsrmvn_mxn_16_kernelILj48ELj12ELj3EfEEvi20rocsparse_direction_NS_24const_host_device_scalarIT2_EEPKiS6_PKS3_iiS8_S4_PS3_21rocsparse_index_base_b.has_indirect_call, 0
	.section	.AMDGPU.csdata,"",@progbits
; Kernel info:
; codeLenInByte = 912
; TotalNumSgprs: 26
; NumVgprs: 13
; ScratchSize: 0
; MemoryBound: 0
; FloatMode: 240
; IeeeMode: 1
; LDSByteSize: 144 bytes/workgroup (compile time only)
; SGPRBlocks: 3
; VGPRBlocks: 3
; NumSGPRsForWavesPerEU: 26
; NumVGPRsForWavesPerEU: 13
; Occupancy: 10
; WaveLimiterHint : 1
; COMPUTE_PGM_RSRC2:SCRATCH_EN: 0
; COMPUTE_PGM_RSRC2:USER_SGPR: 6
; COMPUTE_PGM_RSRC2:TRAP_HANDLER: 0
; COMPUTE_PGM_RSRC2:TGID_X_EN: 1
; COMPUTE_PGM_RSRC2:TGID_Y_EN: 0
; COMPUTE_PGM_RSRC2:TGID_Z_EN: 0
; COMPUTE_PGM_RSRC2:TIDIG_COMP_CNT: 0
	.section	.text._ZN9rocsparseL22gebsrmvn_mxn_16_kernelILj60ELj12ELj4EfEEvi20rocsparse_direction_NS_24const_host_device_scalarIT2_EEPKiS6_PKS3_iiS8_S4_PS3_21rocsparse_index_base_b,"axG",@progbits,_ZN9rocsparseL22gebsrmvn_mxn_16_kernelILj60ELj12ELj4EfEEvi20rocsparse_direction_NS_24const_host_device_scalarIT2_EEPKiS6_PKS3_iiS8_S4_PS3_21rocsparse_index_base_b,comdat
	.globl	_ZN9rocsparseL22gebsrmvn_mxn_16_kernelILj60ELj12ELj4EfEEvi20rocsparse_direction_NS_24const_host_device_scalarIT2_EEPKiS6_PKS3_iiS8_S4_PS3_21rocsparse_index_base_b ; -- Begin function _ZN9rocsparseL22gebsrmvn_mxn_16_kernelILj60ELj12ELj4EfEEvi20rocsparse_direction_NS_24const_host_device_scalarIT2_EEPKiS6_PKS3_iiS8_S4_PS3_21rocsparse_index_base_b
	.p2align	8
	.type	_ZN9rocsparseL22gebsrmvn_mxn_16_kernelILj60ELj12ELj4EfEEvi20rocsparse_direction_NS_24const_host_device_scalarIT2_EEPKiS6_PKS3_iiS8_S4_PS3_21rocsparse_index_base_b,@function
_ZN9rocsparseL22gebsrmvn_mxn_16_kernelILj60ELj12ELj4EfEEvi20rocsparse_direction_NS_24const_host_device_scalarIT2_EEPKiS6_PKS3_iiS8_S4_PS3_21rocsparse_index_base_b: ; @_ZN9rocsparseL22gebsrmvn_mxn_16_kernelILj60ELj12ELj4EfEEvi20rocsparse_direction_NS_24const_host_device_scalarIT2_EEPKiS6_PKS3_iiS8_S4_PS3_21rocsparse_index_base_b
; %bb.0:
	s_load_dwordx2 s[14:15], s[4:5], 0x48
	s_load_dwordx2 s[10:11], s[4:5], 0x8
	;; [unrolled: 1-line block ×3, first 2 shown]
	s_waitcnt lgkmcnt(0)
	s_bitcmp1_b32 s15, 0
	s_cselect_b64 s[2:3], -1, 0
	s_xor_b64 s[0:1], s[2:3], -1
	s_and_b64 vcc, exec, s[2:3]
	s_cbranch_vccnz .LBB29_2
; %bb.1:
	s_load_dword s10, s[10:11], 0x0
.LBB29_2:
	s_andn2_b64 vcc, exec, s[0:1]
	s_cbranch_vccnz .LBB29_4
; %bb.3:
	s_load_dword s8, s[8:9], 0x0
.LBB29_4:
	s_waitcnt lgkmcnt(0)
	v_cmp_eq_f32_e64 s[0:1], s10, 0
	v_cmp_eq_f32_e64 s[2:3], s8, 1.0
	s_and_b64 s[0:1], s[0:1], s[2:3]
	s_and_b64 vcc, exec, s[0:1]
	s_cbranch_vccnz .LBB29_32
; %bb.5:
	s_load_dword s2, s[4:5], 0x4
	s_load_dwordx2 s[0:1], s[4:5], 0x10
	v_and_b32_e32 v6, 3, v0
	v_mov_b32_e32 v7, v6
	s_waitcnt lgkmcnt(0)
	s_cmp_lg_u32 s2, 1
	s_cselect_b64 s[16:17], -1, 0
	s_and_b64 vcc, exec, s[16:17]
	s_cbranch_vccnz .LBB29_7
; %bb.6:
	v_mul_u32_u24_e32 v1, 0x1556, v0
	v_bfe_u32 v7, v1, 16, 2
.LBB29_7:
	s_ashr_i32 s7, s6, 31
	s_lshl_b64 s[2:3], s[6:7], 2
	s_add_u32 s0, s0, s2
	s_addc_u32 s1, s1, s3
	s_load_dwordx2 s[20:21], s[0:1], 0x0
	s_load_dwordx2 s[12:13], s[4:5], 0x40
	v_mov_b32_e32 v5, 0
	s_waitcnt lgkmcnt(0)
	s_cmp_ge_i32 s20, s21
	s_cbranch_scc1 .LBB29_12
; %bb.8:
	s_load_dwordx4 s[0:3], s[4:5], 0x18
	s_load_dwordx2 s[18:19], s[4:5], 0x30
	v_mad_u64_u32 v[1:2], s[4:5], s20, 48, v[0:1]
	s_mul_i32 s4, s14, 48
	v_mov_b32_e32 v2, 0
	s_sub_i32 s7, s21, s14
	s_sub_i32 s9, s20, s14
	v_mul_u32_u24_e32 v8, 0x556, v0
	v_subrev_u32_e32 v1, s4, v1
	v_mov_b32_e32 v5, v2
	s_branch .LBB29_10
.LBB29_9:                               ;   in Loop: Header=BB29_10 Depth=1
	s_or_b64 exec, exec, s[4:5]
	s_add_i32 s9, s9, 1
	s_cmp_ge_i32 s9, s7
	v_add_u32_e32 v1, 48, v1
	s_cbranch_scc1 .LBB29_12
.LBB29_10:                              ; =>This Inner Loop Header: Depth=1
	v_add_u32_sdwa v3, v8, s9 dst_sel:DWORD dst_unused:UNUSED_PAD src0_sel:WORD_1 src1_sel:DWORD
	v_cmp_gt_i32_e32 vcc, s7, v3
	s_and_saveexec_b64 s[4:5], vcc
	s_cbranch_execz .LBB29_9
; %bb.11:                               ;   in Loop: Header=BB29_10 Depth=1
	v_ashrrev_i32_e32 v4, 31, v3
	v_lshlrev_b64 v[3:4], 2, v[3:4]
	s_waitcnt lgkmcnt(0)
	v_mov_b32_e32 v9, s1
	v_add_co_u32_e32 v3, vcc, s0, v3
	v_addc_co_u32_e32 v4, vcc, v9, v4, vcc
	global_load_dword v9, v[3:4], off
	v_lshlrev_b64 v[3:4], 2, v[1:2]
	v_mov_b32_e32 v10, s3
	v_add_co_u32_e32 v3, vcc, s2, v3
	v_addc_co_u32_e32 v4, vcc, v10, v4, vcc
	global_load_dword v10, v[3:4], off
	v_mov_b32_e32 v11, s19
	s_waitcnt vmcnt(1)
	v_subrev_u32_e32 v3, s14, v9
	v_lshl_or_b32 v3, v3, 2, v7
	v_ashrrev_i32_e32 v4, 31, v3
	v_lshlrev_b64 v[3:4], 2, v[3:4]
	v_add_co_u32_e32 v3, vcc, s18, v3
	v_addc_co_u32_e32 v4, vcc, v11, v4, vcc
	global_load_dword v3, v[3:4], off
	s_waitcnt vmcnt(0)
	v_fmac_f32_e32 v5, v10, v3
	s_branch .LBB29_9
.LBB29_12:
	v_lshlrev_b32_e32 v1, 2, v0
	s_and_b64 vcc, exec, s[16:17]
	ds_write_b32 v1, v5
	s_waitcnt lgkmcnt(0)
	; wave barrier
	s_cbranch_vccz .LBB29_20
; %bb.13:
	v_cmp_gt_u32_e32 vcc, 2, v6
	s_and_saveexec_b64 s[0:1], vcc
	s_cbranch_execz .LBB29_15
; %bb.14:
	ds_read2_b32 v[2:3], v1 offset1:2
	s_waitcnt lgkmcnt(0)
	v_add_f32_e32 v2, v3, v2
	ds_write_b32 v1, v2
.LBB29_15:
	s_or_b64 exec, exec, s[0:1]
	v_cmp_eq_u32_e32 vcc, 0, v6
	s_waitcnt lgkmcnt(0)
	; wave barrier
	s_and_saveexec_b64 s[0:1], vcc
	s_cbranch_execz .LBB29_17
; %bb.16:
	ds_read2_b32 v[2:3], v1 offset1:1
	s_waitcnt lgkmcnt(0)
	v_add_f32_e32 v2, v3, v2
	ds_write_b32 v1, v2
.LBB29_17:
	s_or_b64 exec, exec, s[0:1]
	v_cmp_gt_u32_e32 vcc, 12, v0
	v_mov_b32_e32 v2, v5
	s_waitcnt lgkmcnt(0)
	; wave barrier
	s_and_saveexec_b64 s[0:1], vcc
; %bb.18:
	v_mad_u32_u24 v2, v0, 12, v1
	ds_read_b32 v2, v2
; %bb.19:
	s_or_b64 exec, exec, s[0:1]
	s_branch .LBB29_28
.LBB29_20:
                                        ; implicit-def: $vgpr2
	s_cbranch_execz .LBB29_28
; %bb.21:
	v_cmp_gt_u32_e32 vcc, 24, v0
	s_and_saveexec_b64 s[0:1], vcc
	s_cbranch_execz .LBB29_23
; %bb.22:
	s_waitcnt lgkmcnt(0)
	ds_read2_b32 v[2:3], v1 offset1:24
	s_waitcnt lgkmcnt(0)
	v_add_f32_e32 v2, v3, v2
	ds_write_b32 v1, v2
.LBB29_23:
	s_or_b64 exec, exec, s[0:1]
	v_cmp_lt_u32_e32 vcc, 11, v0
	s_waitcnt lgkmcnt(0)
	s_and_saveexec_b64 s[0:1], vcc
	s_xor_b64 s[0:1], exec, s[0:1]
; %bb.24:
                                        ; implicit-def: $vgpr1
; %bb.25:
	s_andn2_saveexec_b64 s[0:1], s[0:1]
	s_cbranch_execz .LBB29_27
; %bb.26:
	ds_read2_b32 v[2:3], v1 offset1:12
	s_waitcnt lgkmcnt(0)
	v_add_f32_e32 v2, v3, v2
	ds_write_b32 v1, v2
	s_waitcnt lgkmcnt(0)
	ds_read_b32 v5, v1
.LBB29_27:
	s_or_b64 exec, exec, s[0:1]
	s_waitcnt lgkmcnt(0)
	v_mov_b32_e32 v2, v5
.LBB29_28:
	v_cmp_gt_u32_e32 vcc, 12, v0
	s_and_saveexec_b64 s[0:1], vcc
	s_cbranch_execz .LBB29_32
; %bb.29:
	v_cmp_eq_f32_e64 s[0:1], s8, 0
	s_and_b64 vcc, exec, s[0:1]
	s_waitcnt lgkmcnt(0)
	v_mul_f32_e32 v1, s10, v2
	s_cbranch_vccz .LBB29_33
; %bb.30:
	v_mad_u64_u32 v[2:3], s[0:1], s6, 12, v[0:1]
	v_mov_b32_e32 v3, 0
	v_mov_b32_e32 v4, s13
	v_lshlrev_b64 v[2:3], 2, v[2:3]
	v_add_co_u32_e32 v2, vcc, s12, v2
	v_addc_co_u32_e32 v3, vcc, v4, v3, vcc
	global_store_dword v[2:3], v1, off
	s_cbranch_execnz .LBB29_32
.LBB29_31:
	v_mad_u64_u32 v[2:3], s[0:1], s6, 12, v[0:1]
	v_mov_b32_e32 v3, 0
	v_mov_b32_e32 v0, s13
	v_lshlrev_b64 v[2:3], 2, v[2:3]
	v_add_co_u32_e32 v2, vcc, s12, v2
	v_addc_co_u32_e32 v3, vcc, v0, v3, vcc
	global_load_dword v0, v[2:3], off
	s_waitcnt vmcnt(0)
	v_fmac_f32_e32 v1, s8, v0
	global_store_dword v[2:3], v1, off
.LBB29_32:
	s_endpgm
.LBB29_33:
	s_branch .LBB29_31
	.section	.rodata,"a",@progbits
	.p2align	6, 0x0
	.amdhsa_kernel _ZN9rocsparseL22gebsrmvn_mxn_16_kernelILj60ELj12ELj4EfEEvi20rocsparse_direction_NS_24const_host_device_scalarIT2_EEPKiS6_PKS3_iiS8_S4_PS3_21rocsparse_index_base_b
		.amdhsa_group_segment_fixed_size 192
		.amdhsa_private_segment_fixed_size 0
		.amdhsa_kernarg_size 80
		.amdhsa_user_sgpr_count 6
		.amdhsa_user_sgpr_private_segment_buffer 1
		.amdhsa_user_sgpr_dispatch_ptr 0
		.amdhsa_user_sgpr_queue_ptr 0
		.amdhsa_user_sgpr_kernarg_segment_ptr 1
		.amdhsa_user_sgpr_dispatch_id 0
		.amdhsa_user_sgpr_flat_scratch_init 0
		.amdhsa_user_sgpr_private_segment_size 0
		.amdhsa_uses_dynamic_stack 0
		.amdhsa_system_sgpr_private_segment_wavefront_offset 0
		.amdhsa_system_sgpr_workgroup_id_x 1
		.amdhsa_system_sgpr_workgroup_id_y 0
		.amdhsa_system_sgpr_workgroup_id_z 0
		.amdhsa_system_sgpr_workgroup_info 0
		.amdhsa_system_vgpr_workitem_id 0
		.amdhsa_next_free_vgpr 12
		.amdhsa_next_free_sgpr 22
		.amdhsa_reserve_vcc 1
		.amdhsa_reserve_flat_scratch 0
		.amdhsa_float_round_mode_32 0
		.amdhsa_float_round_mode_16_64 0
		.amdhsa_float_denorm_mode_32 3
		.amdhsa_float_denorm_mode_16_64 3
		.amdhsa_dx10_clamp 1
		.amdhsa_ieee_mode 1
		.amdhsa_fp16_overflow 0
		.amdhsa_exception_fp_ieee_invalid_op 0
		.amdhsa_exception_fp_denorm_src 0
		.amdhsa_exception_fp_ieee_div_zero 0
		.amdhsa_exception_fp_ieee_overflow 0
		.amdhsa_exception_fp_ieee_underflow 0
		.amdhsa_exception_fp_ieee_inexact 0
		.amdhsa_exception_int_div_zero 0
	.end_amdhsa_kernel
	.section	.text._ZN9rocsparseL22gebsrmvn_mxn_16_kernelILj60ELj12ELj4EfEEvi20rocsparse_direction_NS_24const_host_device_scalarIT2_EEPKiS6_PKS3_iiS8_S4_PS3_21rocsparse_index_base_b,"axG",@progbits,_ZN9rocsparseL22gebsrmvn_mxn_16_kernelILj60ELj12ELj4EfEEvi20rocsparse_direction_NS_24const_host_device_scalarIT2_EEPKiS6_PKS3_iiS8_S4_PS3_21rocsparse_index_base_b,comdat
.Lfunc_end29:
	.size	_ZN9rocsparseL22gebsrmvn_mxn_16_kernelILj60ELj12ELj4EfEEvi20rocsparse_direction_NS_24const_host_device_scalarIT2_EEPKiS6_PKS3_iiS8_S4_PS3_21rocsparse_index_base_b, .Lfunc_end29-_ZN9rocsparseL22gebsrmvn_mxn_16_kernelILj60ELj12ELj4EfEEvi20rocsparse_direction_NS_24const_host_device_scalarIT2_EEPKiS6_PKS3_iiS8_S4_PS3_21rocsparse_index_base_b
                                        ; -- End function
	.set _ZN9rocsparseL22gebsrmvn_mxn_16_kernelILj60ELj12ELj4EfEEvi20rocsparse_direction_NS_24const_host_device_scalarIT2_EEPKiS6_PKS3_iiS8_S4_PS3_21rocsparse_index_base_b.num_vgpr, 12
	.set _ZN9rocsparseL22gebsrmvn_mxn_16_kernelILj60ELj12ELj4EfEEvi20rocsparse_direction_NS_24const_host_device_scalarIT2_EEPKiS6_PKS3_iiS8_S4_PS3_21rocsparse_index_base_b.num_agpr, 0
	.set _ZN9rocsparseL22gebsrmvn_mxn_16_kernelILj60ELj12ELj4EfEEvi20rocsparse_direction_NS_24const_host_device_scalarIT2_EEPKiS6_PKS3_iiS8_S4_PS3_21rocsparse_index_base_b.numbered_sgpr, 22
	.set _ZN9rocsparseL22gebsrmvn_mxn_16_kernelILj60ELj12ELj4EfEEvi20rocsparse_direction_NS_24const_host_device_scalarIT2_EEPKiS6_PKS3_iiS8_S4_PS3_21rocsparse_index_base_b.num_named_barrier, 0
	.set _ZN9rocsparseL22gebsrmvn_mxn_16_kernelILj60ELj12ELj4EfEEvi20rocsparse_direction_NS_24const_host_device_scalarIT2_EEPKiS6_PKS3_iiS8_S4_PS3_21rocsparse_index_base_b.private_seg_size, 0
	.set _ZN9rocsparseL22gebsrmvn_mxn_16_kernelILj60ELj12ELj4EfEEvi20rocsparse_direction_NS_24const_host_device_scalarIT2_EEPKiS6_PKS3_iiS8_S4_PS3_21rocsparse_index_base_b.uses_vcc, 1
	.set _ZN9rocsparseL22gebsrmvn_mxn_16_kernelILj60ELj12ELj4EfEEvi20rocsparse_direction_NS_24const_host_device_scalarIT2_EEPKiS6_PKS3_iiS8_S4_PS3_21rocsparse_index_base_b.uses_flat_scratch, 0
	.set _ZN9rocsparseL22gebsrmvn_mxn_16_kernelILj60ELj12ELj4EfEEvi20rocsparse_direction_NS_24const_host_device_scalarIT2_EEPKiS6_PKS3_iiS8_S4_PS3_21rocsparse_index_base_b.has_dyn_sized_stack, 0
	.set _ZN9rocsparseL22gebsrmvn_mxn_16_kernelILj60ELj12ELj4EfEEvi20rocsparse_direction_NS_24const_host_device_scalarIT2_EEPKiS6_PKS3_iiS8_S4_PS3_21rocsparse_index_base_b.has_recursion, 0
	.set _ZN9rocsparseL22gebsrmvn_mxn_16_kernelILj60ELj12ELj4EfEEvi20rocsparse_direction_NS_24const_host_device_scalarIT2_EEPKiS6_PKS3_iiS8_S4_PS3_21rocsparse_index_base_b.has_indirect_call, 0
	.section	.AMDGPU.csdata,"",@progbits
; Kernel info:
; codeLenInByte = 848
; TotalNumSgprs: 26
; NumVgprs: 12
; ScratchSize: 0
; MemoryBound: 0
; FloatMode: 240
; IeeeMode: 1
; LDSByteSize: 192 bytes/workgroup (compile time only)
; SGPRBlocks: 3
; VGPRBlocks: 2
; NumSGPRsForWavesPerEU: 26
; NumVGPRsForWavesPerEU: 12
; Occupancy: 10
; WaveLimiterHint : 1
; COMPUTE_PGM_RSRC2:SCRATCH_EN: 0
; COMPUTE_PGM_RSRC2:USER_SGPR: 6
; COMPUTE_PGM_RSRC2:TRAP_HANDLER: 0
; COMPUTE_PGM_RSRC2:TGID_X_EN: 1
; COMPUTE_PGM_RSRC2:TGID_Y_EN: 0
; COMPUTE_PGM_RSRC2:TGID_Z_EN: 0
; COMPUTE_PGM_RSRC2:TIDIG_COMP_CNT: 0
	.section	.text._ZN9rocsparseL22gebsrmvn_mxn_16_kernelILj60ELj12ELj5EfEEvi20rocsparse_direction_NS_24const_host_device_scalarIT2_EEPKiS6_PKS3_iiS8_S4_PS3_21rocsparse_index_base_b,"axG",@progbits,_ZN9rocsparseL22gebsrmvn_mxn_16_kernelILj60ELj12ELj5EfEEvi20rocsparse_direction_NS_24const_host_device_scalarIT2_EEPKiS6_PKS3_iiS8_S4_PS3_21rocsparse_index_base_b,comdat
	.globl	_ZN9rocsparseL22gebsrmvn_mxn_16_kernelILj60ELj12ELj5EfEEvi20rocsparse_direction_NS_24const_host_device_scalarIT2_EEPKiS6_PKS3_iiS8_S4_PS3_21rocsparse_index_base_b ; -- Begin function _ZN9rocsparseL22gebsrmvn_mxn_16_kernelILj60ELj12ELj5EfEEvi20rocsparse_direction_NS_24const_host_device_scalarIT2_EEPKiS6_PKS3_iiS8_S4_PS3_21rocsparse_index_base_b
	.p2align	8
	.type	_ZN9rocsparseL22gebsrmvn_mxn_16_kernelILj60ELj12ELj5EfEEvi20rocsparse_direction_NS_24const_host_device_scalarIT2_EEPKiS6_PKS3_iiS8_S4_PS3_21rocsparse_index_base_b,@function
_ZN9rocsparseL22gebsrmvn_mxn_16_kernelILj60ELj12ELj5EfEEvi20rocsparse_direction_NS_24const_host_device_scalarIT2_EEPKiS6_PKS3_iiS8_S4_PS3_21rocsparse_index_base_b: ; @_ZN9rocsparseL22gebsrmvn_mxn_16_kernelILj60ELj12ELj5EfEEvi20rocsparse_direction_NS_24const_host_device_scalarIT2_EEPKiS6_PKS3_iiS8_S4_PS3_21rocsparse_index_base_b
; %bb.0:
	s_load_dwordx2 s[14:15], s[4:5], 0x48
	s_load_dwordx2 s[10:11], s[4:5], 0x8
	s_load_dwordx2 s[8:9], s[4:5], 0x38
	s_waitcnt lgkmcnt(0)
	s_bitcmp1_b32 s15, 0
	s_cselect_b64 s[2:3], -1, 0
	s_xor_b64 s[0:1], s[2:3], -1
	s_and_b64 vcc, exec, s[2:3]
	s_cbranch_vccnz .LBB30_2
; %bb.1:
	s_load_dword s10, s[10:11], 0x0
.LBB30_2:
	s_andn2_b64 vcc, exec, s[0:1]
	s_cbranch_vccnz .LBB30_4
; %bb.3:
	s_load_dword s8, s[8:9], 0x0
.LBB30_4:
	s_waitcnt lgkmcnt(0)
	v_cmp_eq_f32_e64 s[0:1], s10, 0
	v_cmp_eq_f32_e64 s[2:3], s8, 1.0
	s_and_b64 s[0:1], s[0:1], s[2:3]
	s_and_b64 vcc, exec, s[0:1]
	s_cbranch_vccnz .LBB30_36
; %bb.5:
	s_load_dwordx2 s[0:1], s[4:5], 0x10
	s_load_dword s2, s[4:5], 0x4
	v_mul_u32_u24_e32 v1, 0x3334, v0
	v_mov_b32_e32 v2, 5
	v_mul_lo_u16_sdwa v1, v1, v2 dst_sel:DWORD dst_unused:UNUSED_PAD src0_sel:WORD_1 src1_sel:DWORD
	v_sub_u16_e32 v7, v0, v1
	s_waitcnt lgkmcnt(0)
	s_cmp_lg_u32 s2, 1
	s_cselect_b64 s[16:17], -1, 0
	s_and_b64 vcc, exec, s[16:17]
	v_mov_b32_e32 v1, v7
	s_cbranch_vccnz .LBB30_7
; %bb.6:
	s_movk_i32 s2, 0x1556
	v_mul_u32_u24_sdwa v1, v0, s2 dst_sel:DWORD dst_unused:UNUSED_PAD src0_sel:WORD_0 src1_sel:DWORD
	v_mov_b32_e32 v3, 52
	v_mul_lo_u16_sdwa v3, v1, v3 dst_sel:DWORD dst_unused:UNUSED_PAD src0_sel:WORD_1 src1_sel:DWORD
	v_mul_lo_u16_sdwa v2, v3, v2 dst_sel:DWORD dst_unused:UNUSED_PAD src0_sel:BYTE_1 src1_sel:DWORD
	v_sub_u16_sdwa v1, v1, v2 dst_sel:DWORD dst_unused:UNUSED_PAD src0_sel:WORD_1 src1_sel:DWORD
	v_and_b32_e32 v1, 0xff, v1
.LBB30_7:
	s_ashr_i32 s7, s6, 31
	s_lshl_b64 s[2:3], s[6:7], 2
	s_add_u32 s0, s0, s2
	s_addc_u32 s1, s1, s3
	s_load_dwordx2 s[20:21], s[0:1], 0x0
	s_load_dwordx2 s[12:13], s[4:5], 0x40
	v_mov_b32_e32 v6, 0
	s_waitcnt lgkmcnt(0)
	s_cmp_ge_i32 s20, s21
	s_cbranch_scc1 .LBB30_12
; %bb.8:
	s_load_dwordx4 s[0:3], s[4:5], 0x18
	s_load_dwordx2 s[18:19], s[4:5], 0x30
	v_mad_u64_u32 v[2:3], s[4:5], s20, 60, v[0:1]
	s_movk_i32 s4, 0x445
	v_mul_u32_u24_sdwa v8, v0, s4 dst_sel:DWORD dst_unused:UNUSED_PAD src0_sel:WORD_0 src1_sel:DWORD
	s_mul_i32 s4, s14, 60
	v_mov_b32_e32 v3, 0
	s_sub_i32 s7, s21, s14
	s_sub_i32 s9, s20, s14
	v_subrev_u32_e32 v2, s4, v2
	v_mov_b32_e32 v6, v3
	s_branch .LBB30_10
.LBB30_9:                               ;   in Loop: Header=BB30_10 Depth=1
	s_or_b64 exec, exec, s[4:5]
	s_add_i32 s9, s9, 1
	s_cmp_ge_i32 s9, s7
	v_add_u32_e32 v2, 60, v2
	s_cbranch_scc1 .LBB30_12
.LBB30_10:                              ; =>This Inner Loop Header: Depth=1
	v_add_u32_sdwa v4, v8, s9 dst_sel:DWORD dst_unused:UNUSED_PAD src0_sel:WORD_1 src1_sel:DWORD
	v_cmp_gt_i32_e32 vcc, s7, v4
	s_and_saveexec_b64 s[4:5], vcc
	s_cbranch_execz .LBB30_9
; %bb.11:                               ;   in Loop: Header=BB30_10 Depth=1
	v_ashrrev_i32_e32 v5, 31, v4
	v_lshlrev_b64 v[4:5], 2, v[4:5]
	s_waitcnt lgkmcnt(0)
	v_mov_b32_e32 v9, s1
	v_add_co_u32_e32 v4, vcc, s0, v4
	v_addc_co_u32_e32 v5, vcc, v9, v5, vcc
	global_load_dword v9, v[4:5], off
	v_lshlrev_b64 v[4:5], 2, v[2:3]
	v_mov_b32_e32 v11, s3
	v_add_co_u32_e32 v4, vcc, s2, v4
	v_addc_co_u32_e32 v5, vcc, v11, v5, vcc
	global_load_dword v11, v[4:5], off
	v_mov_b32_e32 v12, s19
	s_waitcnt vmcnt(1)
	v_subrev_u32_e32 v9, s14, v9
	v_mad_u64_u32 v[9:10], s[20:21], v9, 5, v[1:2]
	v_ashrrev_i32_e32 v10, 31, v9
	v_lshlrev_b64 v[4:5], 2, v[9:10]
	v_add_co_u32_e32 v4, vcc, s18, v4
	v_addc_co_u32_e32 v5, vcc, v12, v5, vcc
	global_load_dword v4, v[4:5], off
	s_waitcnt vmcnt(0)
	v_fmac_f32_e32 v6, v11, v4
	s_branch .LBB30_9
.LBB30_12:
	v_lshlrev_b32_e32 v1, 2, v0
	s_and_b64 vcc, exec, s[16:17]
	ds_write_b32 v1, v6
	s_waitcnt lgkmcnt(0)
	; wave barrier
	s_cbranch_vccz .LBB30_22
; %bb.13:
	v_cmp_eq_u16_e32 vcc, 0, v7
	s_and_saveexec_b64 s[0:1], vcc
	s_cbranch_execz .LBB30_15
; %bb.14:
	ds_read2_b32 v[2:3], v1 offset1:4
	s_waitcnt lgkmcnt(0)
	v_add_f32_e32 v2, v3, v2
	ds_write_b32 v1, v2
.LBB30_15:
	s_or_b64 exec, exec, s[0:1]
	v_cmp_gt_u16_e64 s[0:1], 2, v7
	s_waitcnt lgkmcnt(0)
	; wave barrier
	s_and_saveexec_b64 s[2:3], s[0:1]
	s_cbranch_execz .LBB30_17
; %bb.16:
	ds_read2_b32 v[2:3], v1 offset1:2
	s_waitcnt lgkmcnt(0)
	v_add_f32_e32 v2, v3, v2
	ds_write_b32 v1, v2
.LBB30_17:
	s_or_b64 exec, exec, s[2:3]
	s_waitcnt lgkmcnt(0)
	; wave barrier
	s_and_saveexec_b64 s[0:1], vcc
	s_cbranch_execz .LBB30_19
; %bb.18:
	ds_read2_b32 v[2:3], v1 offset1:1
	s_waitcnt lgkmcnt(0)
	v_add_f32_e32 v2, v3, v2
	ds_write_b32 v1, v2
.LBB30_19:
	s_or_b64 exec, exec, s[0:1]
	v_cmp_gt_u32_e32 vcc, 12, v0
	v_mov_b32_e32 v2, v6
	s_waitcnt lgkmcnt(0)
	; wave barrier
	s_and_saveexec_b64 s[0:1], vcc
; %bb.20:
	v_lshl_add_u32 v2, v0, 4, v1
	ds_read_b32 v2, v2
; %bb.21:
	s_or_b64 exec, exec, s[0:1]
	v_cmp_gt_u32_e64 s[0:1], 12, v0
	s_branch .LBB30_32
.LBB30_22:
                                        ; implicit-def: $vgpr2
	v_cmp_gt_u32_e64 s[0:1], 12, v0
	s_cbranch_execz .LBB30_32
; %bb.23:
	v_cmp_lt_u32_e32 vcc, 11, v0
	s_and_saveexec_b64 s[2:3], s[0:1]
	s_cbranch_execz .LBB30_25
; %bb.24:
	s_waitcnt lgkmcnt(0)
	ds_read2_b32 v[2:3], v1 offset1:48
	s_waitcnt lgkmcnt(0)
	v_add_f32_e32 v2, v3, v2
	ds_write_b32 v1, v2
.LBB30_25:
	s_or_b64 exec, exec, s[2:3]
	v_cmp_gt_u32_e64 s[0:1], 24, v0
	s_waitcnt lgkmcnt(0)
	; wave barrier
	s_and_saveexec_b64 s[2:3], s[0:1]
	s_cbranch_execz .LBB30_27
; %bb.26:
	ds_read2_b32 v[2:3], v1 offset1:24
	s_waitcnt lgkmcnt(0)
	v_add_f32_e32 v2, v3, v2
	ds_write_b32 v1, v2
.LBB30_27:
	s_or_b64 exec, exec, s[2:3]
	s_waitcnt lgkmcnt(0)
	s_and_saveexec_b64 s[0:1], vcc
	s_xor_b64 s[0:1], exec, s[0:1]
; %bb.28:
                                        ; implicit-def: $vgpr1
; %bb.29:
	s_andn2_saveexec_b64 s[0:1], s[0:1]
	s_cbranch_execz .LBB30_31
; %bb.30:
	ds_read2_b32 v[2:3], v1 offset1:12
	s_waitcnt lgkmcnt(0)
	v_add_f32_e32 v2, v3, v2
	ds_write_b32 v1, v2
	s_waitcnt lgkmcnt(0)
	ds_read_b32 v6, v1
.LBB30_31:
	s_or_b64 exec, exec, s[0:1]
	s_waitcnt lgkmcnt(0)
	v_mov_b32_e32 v2, v6
.LBB30_32:
	v_cmp_gt_u32_e32 vcc, 12, v0
	s_and_saveexec_b64 s[0:1], vcc
	s_cbranch_execz .LBB30_36
; %bb.33:
	v_cmp_eq_f32_e64 s[0:1], s8, 0
	s_and_b64 vcc, exec, s[0:1]
	s_waitcnt lgkmcnt(0)
	v_mul_f32_e32 v1, s10, v2
	s_cbranch_vccz .LBB30_37
; %bb.34:
	v_mad_u64_u32 v[2:3], s[0:1], s6, 12, v[0:1]
	v_mov_b32_e32 v3, 0
	v_mov_b32_e32 v4, s13
	v_lshlrev_b64 v[2:3], 2, v[2:3]
	v_add_co_u32_e32 v2, vcc, s12, v2
	v_addc_co_u32_e32 v3, vcc, v4, v3, vcc
	global_store_dword v[2:3], v1, off
	s_cbranch_execnz .LBB30_36
.LBB30_35:
	v_mad_u64_u32 v[2:3], s[0:1], s6, 12, v[0:1]
	v_mov_b32_e32 v3, 0
	v_mov_b32_e32 v0, s13
	v_lshlrev_b64 v[2:3], 2, v[2:3]
	v_add_co_u32_e32 v2, vcc, s12, v2
	v_addc_co_u32_e32 v3, vcc, v0, v3, vcc
	global_load_dword v0, v[2:3], off
	s_waitcnt vmcnt(0)
	v_fmac_f32_e32 v1, s8, v0
	global_store_dword v[2:3], v1, off
.LBB30_36:
	s_endpgm
.LBB30_37:
	s_branch .LBB30_35
	.section	.rodata,"a",@progbits
	.p2align	6, 0x0
	.amdhsa_kernel _ZN9rocsparseL22gebsrmvn_mxn_16_kernelILj60ELj12ELj5EfEEvi20rocsparse_direction_NS_24const_host_device_scalarIT2_EEPKiS6_PKS3_iiS8_S4_PS3_21rocsparse_index_base_b
		.amdhsa_group_segment_fixed_size 240
		.amdhsa_private_segment_fixed_size 0
		.amdhsa_kernarg_size 80
		.amdhsa_user_sgpr_count 6
		.amdhsa_user_sgpr_private_segment_buffer 1
		.amdhsa_user_sgpr_dispatch_ptr 0
		.amdhsa_user_sgpr_queue_ptr 0
		.amdhsa_user_sgpr_kernarg_segment_ptr 1
		.amdhsa_user_sgpr_dispatch_id 0
		.amdhsa_user_sgpr_flat_scratch_init 0
		.amdhsa_user_sgpr_private_segment_size 0
		.amdhsa_uses_dynamic_stack 0
		.amdhsa_system_sgpr_private_segment_wavefront_offset 0
		.amdhsa_system_sgpr_workgroup_id_x 1
		.amdhsa_system_sgpr_workgroup_id_y 0
		.amdhsa_system_sgpr_workgroup_id_z 0
		.amdhsa_system_sgpr_workgroup_info 0
		.amdhsa_system_vgpr_workitem_id 0
		.amdhsa_next_free_vgpr 13
		.amdhsa_next_free_sgpr 22
		.amdhsa_reserve_vcc 1
		.amdhsa_reserve_flat_scratch 0
		.amdhsa_float_round_mode_32 0
		.amdhsa_float_round_mode_16_64 0
		.amdhsa_float_denorm_mode_32 3
		.amdhsa_float_denorm_mode_16_64 3
		.amdhsa_dx10_clamp 1
		.amdhsa_ieee_mode 1
		.amdhsa_fp16_overflow 0
		.amdhsa_exception_fp_ieee_invalid_op 0
		.amdhsa_exception_fp_denorm_src 0
		.amdhsa_exception_fp_ieee_div_zero 0
		.amdhsa_exception_fp_ieee_overflow 0
		.amdhsa_exception_fp_ieee_underflow 0
		.amdhsa_exception_fp_ieee_inexact 0
		.amdhsa_exception_int_div_zero 0
	.end_amdhsa_kernel
	.section	.text._ZN9rocsparseL22gebsrmvn_mxn_16_kernelILj60ELj12ELj5EfEEvi20rocsparse_direction_NS_24const_host_device_scalarIT2_EEPKiS6_PKS3_iiS8_S4_PS3_21rocsparse_index_base_b,"axG",@progbits,_ZN9rocsparseL22gebsrmvn_mxn_16_kernelILj60ELj12ELj5EfEEvi20rocsparse_direction_NS_24const_host_device_scalarIT2_EEPKiS6_PKS3_iiS8_S4_PS3_21rocsparse_index_base_b,comdat
.Lfunc_end30:
	.size	_ZN9rocsparseL22gebsrmvn_mxn_16_kernelILj60ELj12ELj5EfEEvi20rocsparse_direction_NS_24const_host_device_scalarIT2_EEPKiS6_PKS3_iiS8_S4_PS3_21rocsparse_index_base_b, .Lfunc_end30-_ZN9rocsparseL22gebsrmvn_mxn_16_kernelILj60ELj12ELj5EfEEvi20rocsparse_direction_NS_24const_host_device_scalarIT2_EEPKiS6_PKS3_iiS8_S4_PS3_21rocsparse_index_base_b
                                        ; -- End function
	.set _ZN9rocsparseL22gebsrmvn_mxn_16_kernelILj60ELj12ELj5EfEEvi20rocsparse_direction_NS_24const_host_device_scalarIT2_EEPKiS6_PKS3_iiS8_S4_PS3_21rocsparse_index_base_b.num_vgpr, 13
	.set _ZN9rocsparseL22gebsrmvn_mxn_16_kernelILj60ELj12ELj5EfEEvi20rocsparse_direction_NS_24const_host_device_scalarIT2_EEPKiS6_PKS3_iiS8_S4_PS3_21rocsparse_index_base_b.num_agpr, 0
	.set _ZN9rocsparseL22gebsrmvn_mxn_16_kernelILj60ELj12ELj5EfEEvi20rocsparse_direction_NS_24const_host_device_scalarIT2_EEPKiS6_PKS3_iiS8_S4_PS3_21rocsparse_index_base_b.numbered_sgpr, 22
	.set _ZN9rocsparseL22gebsrmvn_mxn_16_kernelILj60ELj12ELj5EfEEvi20rocsparse_direction_NS_24const_host_device_scalarIT2_EEPKiS6_PKS3_iiS8_S4_PS3_21rocsparse_index_base_b.num_named_barrier, 0
	.set _ZN9rocsparseL22gebsrmvn_mxn_16_kernelILj60ELj12ELj5EfEEvi20rocsparse_direction_NS_24const_host_device_scalarIT2_EEPKiS6_PKS3_iiS8_S4_PS3_21rocsparse_index_base_b.private_seg_size, 0
	.set _ZN9rocsparseL22gebsrmvn_mxn_16_kernelILj60ELj12ELj5EfEEvi20rocsparse_direction_NS_24const_host_device_scalarIT2_EEPKiS6_PKS3_iiS8_S4_PS3_21rocsparse_index_base_b.uses_vcc, 1
	.set _ZN9rocsparseL22gebsrmvn_mxn_16_kernelILj60ELj12ELj5EfEEvi20rocsparse_direction_NS_24const_host_device_scalarIT2_EEPKiS6_PKS3_iiS8_S4_PS3_21rocsparse_index_base_b.uses_flat_scratch, 0
	.set _ZN9rocsparseL22gebsrmvn_mxn_16_kernelILj60ELj12ELj5EfEEvi20rocsparse_direction_NS_24const_host_device_scalarIT2_EEPKiS6_PKS3_iiS8_S4_PS3_21rocsparse_index_base_b.has_dyn_sized_stack, 0
	.set _ZN9rocsparseL22gebsrmvn_mxn_16_kernelILj60ELj12ELj5EfEEvi20rocsparse_direction_NS_24const_host_device_scalarIT2_EEPKiS6_PKS3_iiS8_S4_PS3_21rocsparse_index_base_b.has_recursion, 0
	.set _ZN9rocsparseL22gebsrmvn_mxn_16_kernelILj60ELj12ELj5EfEEvi20rocsparse_direction_NS_24const_host_device_scalarIT2_EEPKiS6_PKS3_iiS8_S4_PS3_21rocsparse_index_base_b.has_indirect_call, 0
	.section	.AMDGPU.csdata,"",@progbits
; Kernel info:
; codeLenInByte = 1008
; TotalNumSgprs: 26
; NumVgprs: 13
; ScratchSize: 0
; MemoryBound: 0
; FloatMode: 240
; IeeeMode: 1
; LDSByteSize: 240 bytes/workgroup (compile time only)
; SGPRBlocks: 3
; VGPRBlocks: 3
; NumSGPRsForWavesPerEU: 26
; NumVGPRsForWavesPerEU: 13
; Occupancy: 10
; WaveLimiterHint : 1
; COMPUTE_PGM_RSRC2:SCRATCH_EN: 0
; COMPUTE_PGM_RSRC2:USER_SGPR: 6
; COMPUTE_PGM_RSRC2:TRAP_HANDLER: 0
; COMPUTE_PGM_RSRC2:TGID_X_EN: 1
; COMPUTE_PGM_RSRC2:TGID_Y_EN: 0
; COMPUTE_PGM_RSRC2:TGID_Z_EN: 0
; COMPUTE_PGM_RSRC2:TIDIG_COMP_CNT: 0
	.section	.text._ZN9rocsparseL22gebsrmvn_mxn_16_kernelILj72ELj12ELj6EfEEvi20rocsparse_direction_NS_24const_host_device_scalarIT2_EEPKiS6_PKS3_iiS8_S4_PS3_21rocsparse_index_base_b,"axG",@progbits,_ZN9rocsparseL22gebsrmvn_mxn_16_kernelILj72ELj12ELj6EfEEvi20rocsparse_direction_NS_24const_host_device_scalarIT2_EEPKiS6_PKS3_iiS8_S4_PS3_21rocsparse_index_base_b,comdat
	.globl	_ZN9rocsparseL22gebsrmvn_mxn_16_kernelILj72ELj12ELj6EfEEvi20rocsparse_direction_NS_24const_host_device_scalarIT2_EEPKiS6_PKS3_iiS8_S4_PS3_21rocsparse_index_base_b ; -- Begin function _ZN9rocsparseL22gebsrmvn_mxn_16_kernelILj72ELj12ELj6EfEEvi20rocsparse_direction_NS_24const_host_device_scalarIT2_EEPKiS6_PKS3_iiS8_S4_PS3_21rocsparse_index_base_b
	.p2align	8
	.type	_ZN9rocsparseL22gebsrmvn_mxn_16_kernelILj72ELj12ELj6EfEEvi20rocsparse_direction_NS_24const_host_device_scalarIT2_EEPKiS6_PKS3_iiS8_S4_PS3_21rocsparse_index_base_b,@function
_ZN9rocsparseL22gebsrmvn_mxn_16_kernelILj72ELj12ELj6EfEEvi20rocsparse_direction_NS_24const_host_device_scalarIT2_EEPKiS6_PKS3_iiS8_S4_PS3_21rocsparse_index_base_b: ; @_ZN9rocsparseL22gebsrmvn_mxn_16_kernelILj72ELj12ELj6EfEEvi20rocsparse_direction_NS_24const_host_device_scalarIT2_EEPKiS6_PKS3_iiS8_S4_PS3_21rocsparse_index_base_b
; %bb.0:
	s_load_dwordx2 s[14:15], s[4:5], 0x48
	s_load_dwordx2 s[10:11], s[4:5], 0x8
	;; [unrolled: 1-line block ×3, first 2 shown]
	s_waitcnt lgkmcnt(0)
	s_bitcmp1_b32 s15, 0
	s_cselect_b64 s[2:3], -1, 0
	s_xor_b64 s[0:1], s[2:3], -1
	s_and_b64 vcc, exec, s[2:3]
	s_cbranch_vccnz .LBB31_2
; %bb.1:
	s_load_dword s10, s[10:11], 0x0
.LBB31_2:
	s_andn2_b64 vcc, exec, s[0:1]
	s_cbranch_vccnz .LBB31_4
; %bb.3:
	s_load_dword s8, s[8:9], 0x0
.LBB31_4:
	s_waitcnt lgkmcnt(0)
	v_cmp_eq_f32_e64 s[0:1], s10, 0
	v_cmp_eq_f32_e64 s[2:3], s8, 1.0
	s_and_b64 s[0:1], s[0:1], s[2:3]
	s_and_b64 vcc, exec, s[0:1]
	s_cbranch_vccnz .LBB31_36
; %bb.5:
	s_load_dwordx2 s[0:1], s[4:5], 0x10
	s_load_dword s2, s[4:5], 0x4
	v_mul_u32_u24_e32 v1, 0x2aab, v0
	v_mov_b32_e32 v2, 6
	v_mul_lo_u16_sdwa v1, v1, v2 dst_sel:DWORD dst_unused:UNUSED_PAD src0_sel:WORD_1 src1_sel:DWORD
	v_sub_u16_e32 v7, v0, v1
	s_waitcnt lgkmcnt(0)
	s_cmp_lg_u32 s2, 1
	s_cselect_b64 s[16:17], -1, 0
	s_and_b64 vcc, exec, s[16:17]
	v_mov_b32_e32 v1, v7
	s_cbranch_vccnz .LBB31_7
; %bb.6:
	s_movk_i32 s2, 0x1556
	v_mul_u32_u24_sdwa v1, v0, s2 dst_sel:DWORD dst_unused:UNUSED_PAD src0_sel:WORD_0 src1_sel:DWORD
	v_mov_b32_e32 v3, 43
	v_mul_lo_u16_sdwa v3, v1, v3 dst_sel:DWORD dst_unused:UNUSED_PAD src0_sel:WORD_1 src1_sel:DWORD
	v_mul_lo_u16_sdwa v2, v3, v2 dst_sel:DWORD dst_unused:UNUSED_PAD src0_sel:BYTE_1 src1_sel:DWORD
	v_sub_u16_sdwa v1, v1, v2 dst_sel:DWORD dst_unused:UNUSED_PAD src0_sel:WORD_1 src1_sel:DWORD
	v_and_b32_e32 v1, 0xff, v1
.LBB31_7:
	s_ashr_i32 s7, s6, 31
	s_lshl_b64 s[2:3], s[6:7], 2
	s_add_u32 s0, s0, s2
	s_addc_u32 s1, s1, s3
	s_load_dwordx2 s[20:21], s[0:1], 0x0
	s_load_dwordx2 s[12:13], s[4:5], 0x40
	v_mov_b32_e32 v6, 0
	s_waitcnt lgkmcnt(0)
	s_cmp_ge_i32 s20, s21
	s_cbranch_scc1 .LBB31_12
; %bb.8:
	s_load_dwordx4 s[0:3], s[4:5], 0x18
	s_load_dwordx2 s[18:19], s[4:5], 0x30
	s_movk_i32 s4, 0x38f
	v_mul_u32_u24_sdwa v8, v0, s4 dst_sel:DWORD dst_unused:UNUSED_PAD src0_sel:WORD_0 src1_sel:DWORD
	s_mul_i32 s4, s20, 0x48
	v_add_u32_e32 v2, s4, v0
	s_mul_i32 s4, s14, 0x48
	v_mov_b32_e32 v3, 0
	s_sub_i32 s7, s21, s14
	s_sub_i32 s9, s20, s14
	v_subrev_u32_e32 v2, s4, v2
	v_mov_b32_e32 v6, v3
	s_branch .LBB31_10
.LBB31_9:                               ;   in Loop: Header=BB31_10 Depth=1
	s_or_b64 exec, exec, s[4:5]
	s_add_i32 s9, s9, 1
	s_cmp_ge_i32 s9, s7
	v_add_u32_e32 v2, 0x48, v2
	s_cbranch_scc1 .LBB31_12
.LBB31_10:                              ; =>This Inner Loop Header: Depth=1
	v_add_u32_sdwa v4, v8, s9 dst_sel:DWORD dst_unused:UNUSED_PAD src0_sel:WORD_1 src1_sel:DWORD
	v_cmp_gt_i32_e32 vcc, s7, v4
	s_and_saveexec_b64 s[4:5], vcc
	s_cbranch_execz .LBB31_9
; %bb.11:                               ;   in Loop: Header=BB31_10 Depth=1
	v_ashrrev_i32_e32 v5, 31, v4
	v_lshlrev_b64 v[4:5], 2, v[4:5]
	s_waitcnt lgkmcnt(0)
	v_mov_b32_e32 v9, s1
	v_add_co_u32_e32 v4, vcc, s0, v4
	v_addc_co_u32_e32 v5, vcc, v9, v5, vcc
	global_load_dword v9, v[4:5], off
	v_lshlrev_b64 v[4:5], 2, v[2:3]
	v_mov_b32_e32 v11, s3
	v_add_co_u32_e32 v4, vcc, s2, v4
	v_addc_co_u32_e32 v5, vcc, v11, v5, vcc
	global_load_dword v11, v[4:5], off
	v_mov_b32_e32 v12, s19
	s_waitcnt vmcnt(1)
	v_subrev_u32_e32 v9, s14, v9
	v_mad_u64_u32 v[9:10], s[20:21], v9, 6, v[1:2]
	v_ashrrev_i32_e32 v10, 31, v9
	v_lshlrev_b64 v[4:5], 2, v[9:10]
	v_add_co_u32_e32 v4, vcc, s18, v4
	v_addc_co_u32_e32 v5, vcc, v12, v5, vcc
	global_load_dword v4, v[4:5], off
	s_waitcnt vmcnt(0)
	v_fmac_f32_e32 v6, v11, v4
	s_branch .LBB31_9
.LBB31_12:
	v_lshlrev_b32_e32 v1, 2, v0
	s_and_b64 vcc, exec, s[16:17]
	ds_write_b32 v1, v6
	s_waitcnt lgkmcnt(0)
	s_barrier
	s_cbranch_vccz .LBB31_22
; %bb.13:
	v_cmp_gt_u16_e32 vcc, 2, v7
	s_and_saveexec_b64 s[0:1], vcc
	s_cbranch_execz .LBB31_15
; %bb.14:
	ds_read2_b32 v[2:3], v1 offset1:4
	s_waitcnt lgkmcnt(0)
	v_add_f32_e32 v2, v3, v2
	ds_write_b32 v1, v2
.LBB31_15:
	s_or_b64 exec, exec, s[0:1]
	s_waitcnt lgkmcnt(0)
	s_barrier
	s_and_saveexec_b64 s[0:1], vcc
	s_cbranch_execz .LBB31_17
; %bb.16:
	ds_read2_b32 v[2:3], v1 offset1:2
	s_waitcnt lgkmcnt(0)
	v_add_f32_e32 v2, v3, v2
	ds_write_b32 v1, v2
.LBB31_17:
	s_or_b64 exec, exec, s[0:1]
	v_cmp_eq_u16_e32 vcc, 0, v7
	s_waitcnt lgkmcnt(0)
	s_barrier
	s_and_saveexec_b64 s[0:1], vcc
	s_cbranch_execz .LBB31_19
; %bb.18:
	ds_read2_b32 v[2:3], v1 offset1:1
	s_waitcnt lgkmcnt(0)
	v_add_f32_e32 v2, v3, v2
	ds_write_b32 v1, v2
.LBB31_19:
	s_or_b64 exec, exec, s[0:1]
	v_cmp_gt_u32_e32 vcc, 12, v0
	v_mov_b32_e32 v2, v6
	s_waitcnt lgkmcnt(0)
	s_barrier
	s_and_saveexec_b64 s[0:1], vcc
; %bb.20:
	v_mad_u32_u24 v2, v0, 20, v1
	ds_read_b32 v2, v2
; %bb.21:
	s_or_b64 exec, exec, s[0:1]
	s_branch .LBB31_32
.LBB31_22:
                                        ; implicit-def: $vgpr2
	s_cbranch_execz .LBB31_32
; %bb.23:
	v_cmp_gt_u32_e32 vcc, 24, v0
	s_and_saveexec_b64 s[0:1], vcc
	s_cbranch_execz .LBB31_25
; %bb.24:
	s_waitcnt lgkmcnt(0)
	ds_read2_b32 v[2:3], v1 offset1:48
	s_waitcnt lgkmcnt(0)
	v_add_f32_e32 v2, v3, v2
	ds_write_b32 v1, v2
.LBB31_25:
	s_or_b64 exec, exec, s[0:1]
	s_waitcnt lgkmcnt(0)
	s_barrier
	s_and_saveexec_b64 s[0:1], vcc
	s_cbranch_execz .LBB31_27
; %bb.26:
	ds_read2_b32 v[2:3], v1 offset1:24
	s_waitcnt lgkmcnt(0)
	v_add_f32_e32 v2, v3, v2
	ds_write_b32 v1, v2
.LBB31_27:
	s_or_b64 exec, exec, s[0:1]
	v_cmp_lt_u32_e32 vcc, 11, v0
	s_waitcnt lgkmcnt(0)
	s_and_saveexec_b64 s[0:1], vcc
	s_xor_b64 s[0:1], exec, s[0:1]
; %bb.28:
                                        ; implicit-def: $vgpr1
; %bb.29:
	s_andn2_saveexec_b64 s[0:1], s[0:1]
	s_cbranch_execz .LBB31_31
; %bb.30:
	ds_read2_b32 v[2:3], v1 offset1:12
	s_waitcnt lgkmcnt(0)
	v_add_f32_e32 v2, v3, v2
	ds_write_b32 v1, v2
	s_waitcnt lgkmcnt(0)
	ds_read_b32 v6, v1
.LBB31_31:
	s_or_b64 exec, exec, s[0:1]
	s_waitcnt lgkmcnt(0)
	v_mov_b32_e32 v2, v6
.LBB31_32:
	v_cmp_gt_u32_e32 vcc, 12, v0
	s_and_saveexec_b64 s[0:1], vcc
	s_cbranch_execz .LBB31_36
; %bb.33:
	v_cmp_eq_f32_e64 s[0:1], s8, 0
	s_and_b64 vcc, exec, s[0:1]
	s_waitcnt lgkmcnt(0)
	v_mul_f32_e32 v1, s10, v2
	s_cbranch_vccz .LBB31_37
; %bb.34:
	v_mad_u64_u32 v[2:3], s[0:1], s6, 12, v[0:1]
	v_mov_b32_e32 v3, 0
	v_mov_b32_e32 v4, s13
	v_lshlrev_b64 v[2:3], 2, v[2:3]
	v_add_co_u32_e32 v2, vcc, s12, v2
	v_addc_co_u32_e32 v3, vcc, v4, v3, vcc
	global_store_dword v[2:3], v1, off
	s_cbranch_execnz .LBB31_36
.LBB31_35:
	v_mad_u64_u32 v[2:3], s[0:1], s6, 12, v[0:1]
	v_mov_b32_e32 v3, 0
	v_mov_b32_e32 v0, s13
	v_lshlrev_b64 v[2:3], 2, v[2:3]
	v_add_co_u32_e32 v2, vcc, s12, v2
	v_addc_co_u32_e32 v3, vcc, v0, v3, vcc
	global_load_dword v0, v[2:3], off
	s_waitcnt vmcnt(0)
	v_fmac_f32_e32 v1, s8, v0
	global_store_dword v[2:3], v1, off
.LBB31_36:
	s_endpgm
.LBB31_37:
	s_branch .LBB31_35
	.section	.rodata,"a",@progbits
	.p2align	6, 0x0
	.amdhsa_kernel _ZN9rocsparseL22gebsrmvn_mxn_16_kernelILj72ELj12ELj6EfEEvi20rocsparse_direction_NS_24const_host_device_scalarIT2_EEPKiS6_PKS3_iiS8_S4_PS3_21rocsparse_index_base_b
		.amdhsa_group_segment_fixed_size 288
		.amdhsa_private_segment_fixed_size 0
		.amdhsa_kernarg_size 80
		.amdhsa_user_sgpr_count 6
		.amdhsa_user_sgpr_private_segment_buffer 1
		.amdhsa_user_sgpr_dispatch_ptr 0
		.amdhsa_user_sgpr_queue_ptr 0
		.amdhsa_user_sgpr_kernarg_segment_ptr 1
		.amdhsa_user_sgpr_dispatch_id 0
		.amdhsa_user_sgpr_flat_scratch_init 0
		.amdhsa_user_sgpr_private_segment_size 0
		.amdhsa_uses_dynamic_stack 0
		.amdhsa_system_sgpr_private_segment_wavefront_offset 0
		.amdhsa_system_sgpr_workgroup_id_x 1
		.amdhsa_system_sgpr_workgroup_id_y 0
		.amdhsa_system_sgpr_workgroup_id_z 0
		.amdhsa_system_sgpr_workgroup_info 0
		.amdhsa_system_vgpr_workitem_id 0
		.amdhsa_next_free_vgpr 13
		.amdhsa_next_free_sgpr 22
		.amdhsa_reserve_vcc 1
		.amdhsa_reserve_flat_scratch 0
		.amdhsa_float_round_mode_32 0
		.amdhsa_float_round_mode_16_64 0
		.amdhsa_float_denorm_mode_32 3
		.amdhsa_float_denorm_mode_16_64 3
		.amdhsa_dx10_clamp 1
		.amdhsa_ieee_mode 1
		.amdhsa_fp16_overflow 0
		.amdhsa_exception_fp_ieee_invalid_op 0
		.amdhsa_exception_fp_denorm_src 0
		.amdhsa_exception_fp_ieee_div_zero 0
		.amdhsa_exception_fp_ieee_overflow 0
		.amdhsa_exception_fp_ieee_underflow 0
		.amdhsa_exception_fp_ieee_inexact 0
		.amdhsa_exception_int_div_zero 0
	.end_amdhsa_kernel
	.section	.text._ZN9rocsparseL22gebsrmvn_mxn_16_kernelILj72ELj12ELj6EfEEvi20rocsparse_direction_NS_24const_host_device_scalarIT2_EEPKiS6_PKS3_iiS8_S4_PS3_21rocsparse_index_base_b,"axG",@progbits,_ZN9rocsparseL22gebsrmvn_mxn_16_kernelILj72ELj12ELj6EfEEvi20rocsparse_direction_NS_24const_host_device_scalarIT2_EEPKiS6_PKS3_iiS8_S4_PS3_21rocsparse_index_base_b,comdat
.Lfunc_end31:
	.size	_ZN9rocsparseL22gebsrmvn_mxn_16_kernelILj72ELj12ELj6EfEEvi20rocsparse_direction_NS_24const_host_device_scalarIT2_EEPKiS6_PKS3_iiS8_S4_PS3_21rocsparse_index_base_b, .Lfunc_end31-_ZN9rocsparseL22gebsrmvn_mxn_16_kernelILj72ELj12ELj6EfEEvi20rocsparse_direction_NS_24const_host_device_scalarIT2_EEPKiS6_PKS3_iiS8_S4_PS3_21rocsparse_index_base_b
                                        ; -- End function
	.set _ZN9rocsparseL22gebsrmvn_mxn_16_kernelILj72ELj12ELj6EfEEvi20rocsparse_direction_NS_24const_host_device_scalarIT2_EEPKiS6_PKS3_iiS8_S4_PS3_21rocsparse_index_base_b.num_vgpr, 13
	.set _ZN9rocsparseL22gebsrmvn_mxn_16_kernelILj72ELj12ELj6EfEEvi20rocsparse_direction_NS_24const_host_device_scalarIT2_EEPKiS6_PKS3_iiS8_S4_PS3_21rocsparse_index_base_b.num_agpr, 0
	.set _ZN9rocsparseL22gebsrmvn_mxn_16_kernelILj72ELj12ELj6EfEEvi20rocsparse_direction_NS_24const_host_device_scalarIT2_EEPKiS6_PKS3_iiS8_S4_PS3_21rocsparse_index_base_b.numbered_sgpr, 22
	.set _ZN9rocsparseL22gebsrmvn_mxn_16_kernelILj72ELj12ELj6EfEEvi20rocsparse_direction_NS_24const_host_device_scalarIT2_EEPKiS6_PKS3_iiS8_S4_PS3_21rocsparse_index_base_b.num_named_barrier, 0
	.set _ZN9rocsparseL22gebsrmvn_mxn_16_kernelILj72ELj12ELj6EfEEvi20rocsparse_direction_NS_24const_host_device_scalarIT2_EEPKiS6_PKS3_iiS8_S4_PS3_21rocsparse_index_base_b.private_seg_size, 0
	.set _ZN9rocsparseL22gebsrmvn_mxn_16_kernelILj72ELj12ELj6EfEEvi20rocsparse_direction_NS_24const_host_device_scalarIT2_EEPKiS6_PKS3_iiS8_S4_PS3_21rocsparse_index_base_b.uses_vcc, 1
	.set _ZN9rocsparseL22gebsrmvn_mxn_16_kernelILj72ELj12ELj6EfEEvi20rocsparse_direction_NS_24const_host_device_scalarIT2_EEPKiS6_PKS3_iiS8_S4_PS3_21rocsparse_index_base_b.uses_flat_scratch, 0
	.set _ZN9rocsparseL22gebsrmvn_mxn_16_kernelILj72ELj12ELj6EfEEvi20rocsparse_direction_NS_24const_host_device_scalarIT2_EEPKiS6_PKS3_iiS8_S4_PS3_21rocsparse_index_base_b.has_dyn_sized_stack, 0
	.set _ZN9rocsparseL22gebsrmvn_mxn_16_kernelILj72ELj12ELj6EfEEvi20rocsparse_direction_NS_24const_host_device_scalarIT2_EEPKiS6_PKS3_iiS8_S4_PS3_21rocsparse_index_base_b.has_recursion, 0
	.set _ZN9rocsparseL22gebsrmvn_mxn_16_kernelILj72ELj12ELj6EfEEvi20rocsparse_direction_NS_24const_host_device_scalarIT2_EEPKiS6_PKS3_iiS8_S4_PS3_21rocsparse_index_base_b.has_indirect_call, 0
	.section	.AMDGPU.csdata,"",@progbits
; Kernel info:
; codeLenInByte = 1016
; TotalNumSgprs: 26
; NumVgprs: 13
; ScratchSize: 0
; MemoryBound: 0
; FloatMode: 240
; IeeeMode: 1
; LDSByteSize: 288 bytes/workgroup (compile time only)
; SGPRBlocks: 3
; VGPRBlocks: 3
; NumSGPRsForWavesPerEU: 26
; NumVGPRsForWavesPerEU: 13
; Occupancy: 10
; WaveLimiterHint : 1
; COMPUTE_PGM_RSRC2:SCRATCH_EN: 0
; COMPUTE_PGM_RSRC2:USER_SGPR: 6
; COMPUTE_PGM_RSRC2:TRAP_HANDLER: 0
; COMPUTE_PGM_RSRC2:TGID_X_EN: 1
; COMPUTE_PGM_RSRC2:TGID_Y_EN: 0
; COMPUTE_PGM_RSRC2:TGID_Z_EN: 0
; COMPUTE_PGM_RSRC2:TIDIG_COMP_CNT: 0
	.section	.text._ZN9rocsparseL22gebsrmvn_mxn_16_kernelILj84ELj12ELj7EfEEvi20rocsparse_direction_NS_24const_host_device_scalarIT2_EEPKiS6_PKS3_iiS8_S4_PS3_21rocsparse_index_base_b,"axG",@progbits,_ZN9rocsparseL22gebsrmvn_mxn_16_kernelILj84ELj12ELj7EfEEvi20rocsparse_direction_NS_24const_host_device_scalarIT2_EEPKiS6_PKS3_iiS8_S4_PS3_21rocsparse_index_base_b,comdat
	.globl	_ZN9rocsparseL22gebsrmvn_mxn_16_kernelILj84ELj12ELj7EfEEvi20rocsparse_direction_NS_24const_host_device_scalarIT2_EEPKiS6_PKS3_iiS8_S4_PS3_21rocsparse_index_base_b ; -- Begin function _ZN9rocsparseL22gebsrmvn_mxn_16_kernelILj84ELj12ELj7EfEEvi20rocsparse_direction_NS_24const_host_device_scalarIT2_EEPKiS6_PKS3_iiS8_S4_PS3_21rocsparse_index_base_b
	.p2align	8
	.type	_ZN9rocsparseL22gebsrmvn_mxn_16_kernelILj84ELj12ELj7EfEEvi20rocsparse_direction_NS_24const_host_device_scalarIT2_EEPKiS6_PKS3_iiS8_S4_PS3_21rocsparse_index_base_b,@function
_ZN9rocsparseL22gebsrmvn_mxn_16_kernelILj84ELj12ELj7EfEEvi20rocsparse_direction_NS_24const_host_device_scalarIT2_EEPKiS6_PKS3_iiS8_S4_PS3_21rocsparse_index_base_b: ; @_ZN9rocsparseL22gebsrmvn_mxn_16_kernelILj84ELj12ELj7EfEEvi20rocsparse_direction_NS_24const_host_device_scalarIT2_EEPKiS6_PKS3_iiS8_S4_PS3_21rocsparse_index_base_b
; %bb.0:
	s_load_dwordx2 s[14:15], s[4:5], 0x48
	s_load_dwordx2 s[10:11], s[4:5], 0x8
	;; [unrolled: 1-line block ×3, first 2 shown]
	s_waitcnt lgkmcnt(0)
	s_bitcmp1_b32 s15, 0
	s_cselect_b64 s[2:3], -1, 0
	s_xor_b64 s[0:1], s[2:3], -1
	s_and_b64 vcc, exec, s[2:3]
	s_cbranch_vccnz .LBB32_2
; %bb.1:
	s_load_dword s10, s[10:11], 0x0
.LBB32_2:
	s_andn2_b64 vcc, exec, s[0:1]
	s_cbranch_vccnz .LBB32_4
; %bb.3:
	s_load_dword s8, s[8:9], 0x0
.LBB32_4:
	s_waitcnt lgkmcnt(0)
	v_cmp_eq_f32_e64 s[0:1], s10, 0
	v_cmp_eq_f32_e64 s[2:3], s8, 1.0
	s_and_b64 s[0:1], s[0:1], s[2:3]
	s_and_b64 vcc, exec, s[0:1]
	s_cbranch_vccnz .LBB32_36
; %bb.5:
	s_load_dwordx2 s[0:1], s[4:5], 0x10
	s_load_dword s2, s[4:5], 0x4
	v_mul_u32_u24_e32 v1, 0x2493, v0
	v_mov_b32_e32 v2, 7
	v_mul_lo_u16_sdwa v1, v1, v2 dst_sel:DWORD dst_unused:UNUSED_PAD src0_sel:WORD_1 src1_sel:DWORD
	v_sub_u16_e32 v7, v0, v1
	s_waitcnt lgkmcnt(0)
	s_cmp_lg_u32 s2, 1
	s_cselect_b64 s[16:17], -1, 0
	s_and_b64 vcc, exec, s[16:17]
	v_mov_b32_e32 v1, v7
	s_cbranch_vccnz .LBB32_7
; %bb.6:
	s_movk_i32 s2, 0x1556
	v_mul_u32_u24_sdwa v1, v0, s2 dst_sel:DWORD dst_unused:UNUSED_PAD src0_sel:WORD_0 src1_sel:DWORD
	v_mov_b32_e32 v3, 37
	v_mul_lo_u16_sdwa v3, v1, v3 dst_sel:DWORD dst_unused:UNUSED_PAD src0_sel:WORD_1 src1_sel:DWORD
	v_mul_lo_u16_sdwa v2, v3, v2 dst_sel:DWORD dst_unused:UNUSED_PAD src0_sel:BYTE_1 src1_sel:DWORD
	v_sub_u16_sdwa v1, v1, v2 dst_sel:DWORD dst_unused:UNUSED_PAD src0_sel:WORD_1 src1_sel:DWORD
	v_and_b32_e32 v1, 0xff, v1
.LBB32_7:
	s_ashr_i32 s7, s6, 31
	s_lshl_b64 s[2:3], s[6:7], 2
	s_add_u32 s0, s0, s2
	s_addc_u32 s1, s1, s3
	s_load_dwordx2 s[20:21], s[0:1], 0x0
	s_load_dwordx2 s[12:13], s[4:5], 0x40
	v_mov_b32_e32 v6, 0
	s_waitcnt lgkmcnt(0)
	s_cmp_ge_i32 s20, s21
	s_cbranch_scc1 .LBB32_12
; %bb.8:
	s_load_dwordx4 s[0:3], s[4:5], 0x18
	s_load_dwordx2 s[18:19], s[4:5], 0x30
	s_movk_i32 s4, 0x30d
	v_mul_u32_u24_sdwa v8, v0, s4 dst_sel:DWORD dst_unused:UNUSED_PAD src0_sel:WORD_0 src1_sel:DWORD
	s_mul_i32 s4, s20, 0x54
	v_add_u32_e32 v2, s4, v0
	s_mul_i32 s4, s14, 0x54
	v_mov_b32_e32 v3, 0
	s_sub_i32 s7, s21, s14
	s_sub_i32 s9, s20, s14
	v_subrev_u32_e32 v2, s4, v2
	v_mov_b32_e32 v6, v3
	s_branch .LBB32_10
.LBB32_9:                               ;   in Loop: Header=BB32_10 Depth=1
	s_or_b64 exec, exec, s[4:5]
	s_add_i32 s9, s9, 1
	s_cmp_ge_i32 s9, s7
	v_add_u32_e32 v2, 0x54, v2
	s_cbranch_scc1 .LBB32_12
.LBB32_10:                              ; =>This Inner Loop Header: Depth=1
	v_add_u32_sdwa v4, v8, s9 dst_sel:DWORD dst_unused:UNUSED_PAD src0_sel:WORD_1 src1_sel:DWORD
	v_cmp_gt_i32_e32 vcc, s7, v4
	s_and_saveexec_b64 s[4:5], vcc
	s_cbranch_execz .LBB32_9
; %bb.11:                               ;   in Loop: Header=BB32_10 Depth=1
	v_ashrrev_i32_e32 v5, 31, v4
	v_lshlrev_b64 v[4:5], 2, v[4:5]
	s_waitcnt lgkmcnt(0)
	v_mov_b32_e32 v9, s1
	v_add_co_u32_e32 v4, vcc, s0, v4
	v_addc_co_u32_e32 v5, vcc, v9, v5, vcc
	global_load_dword v9, v[4:5], off
	v_lshlrev_b64 v[4:5], 2, v[2:3]
	v_mov_b32_e32 v11, s3
	v_add_co_u32_e32 v4, vcc, s2, v4
	v_addc_co_u32_e32 v5, vcc, v11, v5, vcc
	global_load_dword v11, v[4:5], off
	v_mov_b32_e32 v12, s19
	s_waitcnt vmcnt(1)
	v_subrev_u32_e32 v9, s14, v9
	v_mad_u64_u32 v[9:10], s[20:21], v9, 7, v[1:2]
	v_ashrrev_i32_e32 v10, 31, v9
	v_lshlrev_b64 v[4:5], 2, v[9:10]
	v_add_co_u32_e32 v4, vcc, s18, v4
	v_addc_co_u32_e32 v5, vcc, v12, v5, vcc
	global_load_dword v4, v[4:5], off
	s_waitcnt vmcnt(0)
	v_fmac_f32_e32 v6, v11, v4
	s_branch .LBB32_9
.LBB32_12:
	v_lshlrev_b32_e32 v1, 2, v0
	s_and_b64 vcc, exec, s[16:17]
	ds_write_b32 v1, v6
	s_waitcnt lgkmcnt(0)
	s_barrier
	s_cbranch_vccz .LBB32_22
; %bb.13:
	v_cmp_gt_u16_e32 vcc, 3, v7
	s_and_saveexec_b64 s[0:1], vcc
	s_cbranch_execz .LBB32_15
; %bb.14:
	ds_read2_b32 v[2:3], v1 offset1:4
	s_waitcnt lgkmcnt(0)
	v_add_f32_e32 v2, v3, v2
	ds_write_b32 v1, v2
.LBB32_15:
	s_or_b64 exec, exec, s[0:1]
	v_cmp_gt_u16_e32 vcc, 2, v7
	s_waitcnt lgkmcnt(0)
	s_barrier
	s_and_saveexec_b64 s[0:1], vcc
	s_cbranch_execz .LBB32_17
; %bb.16:
	ds_read2_b32 v[2:3], v1 offset1:2
	s_waitcnt lgkmcnt(0)
	v_add_f32_e32 v2, v3, v2
	ds_write_b32 v1, v2
.LBB32_17:
	s_or_b64 exec, exec, s[0:1]
	v_cmp_eq_u16_e32 vcc, 0, v7
	s_waitcnt lgkmcnt(0)
	s_barrier
	s_and_saveexec_b64 s[0:1], vcc
	s_cbranch_execz .LBB32_19
; %bb.18:
	ds_read2_b32 v[2:3], v1 offset1:1
	s_waitcnt lgkmcnt(0)
	v_add_f32_e32 v2, v3, v2
	ds_write_b32 v1, v2
.LBB32_19:
	s_or_b64 exec, exec, s[0:1]
	v_cmp_gt_u32_e32 vcc, 12, v0
	v_mov_b32_e32 v2, v6
	s_waitcnt lgkmcnt(0)
	s_barrier
	s_and_saveexec_b64 s[0:1], vcc
; %bb.20:
	v_mad_u32_u24 v2, v0, 24, v1
	ds_read_b32 v2, v2
; %bb.21:
	s_or_b64 exec, exec, s[0:1]
	s_branch .LBB32_32
.LBB32_22:
                                        ; implicit-def: $vgpr2
	s_cbranch_execz .LBB32_32
; %bb.23:
	v_cmp_gt_u32_e32 vcc, 36, v0
	s_and_saveexec_b64 s[0:1], vcc
	s_cbranch_execz .LBB32_25
; %bb.24:
	s_waitcnt lgkmcnt(0)
	ds_read2_b32 v[2:3], v1 offset1:48
	s_waitcnt lgkmcnt(0)
	v_add_f32_e32 v2, v3, v2
	ds_write_b32 v1, v2
.LBB32_25:
	s_or_b64 exec, exec, s[0:1]
	v_cmp_gt_u32_e32 vcc, 24, v0
	s_waitcnt lgkmcnt(0)
	s_barrier
	s_and_saveexec_b64 s[0:1], vcc
	s_cbranch_execz .LBB32_27
; %bb.26:
	ds_read2_b32 v[2:3], v1 offset1:24
	s_waitcnt lgkmcnt(0)
	v_add_f32_e32 v2, v3, v2
	ds_write_b32 v1, v2
.LBB32_27:
	s_or_b64 exec, exec, s[0:1]
	v_cmp_lt_u32_e32 vcc, 11, v0
	s_waitcnt lgkmcnt(0)
	s_and_saveexec_b64 s[0:1], vcc
	s_xor_b64 s[0:1], exec, s[0:1]
; %bb.28:
                                        ; implicit-def: $vgpr1
; %bb.29:
	s_andn2_saveexec_b64 s[0:1], s[0:1]
	s_cbranch_execz .LBB32_31
; %bb.30:
	ds_read2_b32 v[2:3], v1 offset1:12
	s_waitcnt lgkmcnt(0)
	v_add_f32_e32 v2, v3, v2
	ds_write_b32 v1, v2
	s_waitcnt lgkmcnt(0)
	ds_read_b32 v6, v1
.LBB32_31:
	s_or_b64 exec, exec, s[0:1]
	s_waitcnt lgkmcnt(0)
	v_mov_b32_e32 v2, v6
.LBB32_32:
	v_cmp_gt_u32_e32 vcc, 12, v0
	s_and_saveexec_b64 s[0:1], vcc
	s_cbranch_execz .LBB32_36
; %bb.33:
	v_cmp_eq_f32_e64 s[0:1], s8, 0
	s_and_b64 vcc, exec, s[0:1]
	s_waitcnt lgkmcnt(0)
	v_mul_f32_e32 v1, s10, v2
	s_cbranch_vccz .LBB32_37
; %bb.34:
	v_mad_u64_u32 v[2:3], s[0:1], s6, 12, v[0:1]
	v_mov_b32_e32 v3, 0
	v_mov_b32_e32 v4, s13
	v_lshlrev_b64 v[2:3], 2, v[2:3]
	v_add_co_u32_e32 v2, vcc, s12, v2
	v_addc_co_u32_e32 v3, vcc, v4, v3, vcc
	global_store_dword v[2:3], v1, off
	s_cbranch_execnz .LBB32_36
.LBB32_35:
	v_mad_u64_u32 v[2:3], s[0:1], s6, 12, v[0:1]
	v_mov_b32_e32 v3, 0
	v_mov_b32_e32 v0, s13
	v_lshlrev_b64 v[2:3], 2, v[2:3]
	v_add_co_u32_e32 v2, vcc, s12, v2
	v_addc_co_u32_e32 v3, vcc, v0, v3, vcc
	global_load_dword v0, v[2:3], off
	s_waitcnt vmcnt(0)
	v_fmac_f32_e32 v1, s8, v0
	global_store_dword v[2:3], v1, off
.LBB32_36:
	s_endpgm
.LBB32_37:
	s_branch .LBB32_35
	.section	.rodata,"a",@progbits
	.p2align	6, 0x0
	.amdhsa_kernel _ZN9rocsparseL22gebsrmvn_mxn_16_kernelILj84ELj12ELj7EfEEvi20rocsparse_direction_NS_24const_host_device_scalarIT2_EEPKiS6_PKS3_iiS8_S4_PS3_21rocsparse_index_base_b
		.amdhsa_group_segment_fixed_size 336
		.amdhsa_private_segment_fixed_size 0
		.amdhsa_kernarg_size 80
		.amdhsa_user_sgpr_count 6
		.amdhsa_user_sgpr_private_segment_buffer 1
		.amdhsa_user_sgpr_dispatch_ptr 0
		.amdhsa_user_sgpr_queue_ptr 0
		.amdhsa_user_sgpr_kernarg_segment_ptr 1
		.amdhsa_user_sgpr_dispatch_id 0
		.amdhsa_user_sgpr_flat_scratch_init 0
		.amdhsa_user_sgpr_private_segment_size 0
		.amdhsa_uses_dynamic_stack 0
		.amdhsa_system_sgpr_private_segment_wavefront_offset 0
		.amdhsa_system_sgpr_workgroup_id_x 1
		.amdhsa_system_sgpr_workgroup_id_y 0
		.amdhsa_system_sgpr_workgroup_id_z 0
		.amdhsa_system_sgpr_workgroup_info 0
		.amdhsa_system_vgpr_workitem_id 0
		.amdhsa_next_free_vgpr 13
		.amdhsa_next_free_sgpr 22
		.amdhsa_reserve_vcc 1
		.amdhsa_reserve_flat_scratch 0
		.amdhsa_float_round_mode_32 0
		.amdhsa_float_round_mode_16_64 0
		.amdhsa_float_denorm_mode_32 3
		.amdhsa_float_denorm_mode_16_64 3
		.amdhsa_dx10_clamp 1
		.amdhsa_ieee_mode 1
		.amdhsa_fp16_overflow 0
		.amdhsa_exception_fp_ieee_invalid_op 0
		.amdhsa_exception_fp_denorm_src 0
		.amdhsa_exception_fp_ieee_div_zero 0
		.amdhsa_exception_fp_ieee_overflow 0
		.amdhsa_exception_fp_ieee_underflow 0
		.amdhsa_exception_fp_ieee_inexact 0
		.amdhsa_exception_int_div_zero 0
	.end_amdhsa_kernel
	.section	.text._ZN9rocsparseL22gebsrmvn_mxn_16_kernelILj84ELj12ELj7EfEEvi20rocsparse_direction_NS_24const_host_device_scalarIT2_EEPKiS6_PKS3_iiS8_S4_PS3_21rocsparse_index_base_b,"axG",@progbits,_ZN9rocsparseL22gebsrmvn_mxn_16_kernelILj84ELj12ELj7EfEEvi20rocsparse_direction_NS_24const_host_device_scalarIT2_EEPKiS6_PKS3_iiS8_S4_PS3_21rocsparse_index_base_b,comdat
.Lfunc_end32:
	.size	_ZN9rocsparseL22gebsrmvn_mxn_16_kernelILj84ELj12ELj7EfEEvi20rocsparse_direction_NS_24const_host_device_scalarIT2_EEPKiS6_PKS3_iiS8_S4_PS3_21rocsparse_index_base_b, .Lfunc_end32-_ZN9rocsparseL22gebsrmvn_mxn_16_kernelILj84ELj12ELj7EfEEvi20rocsparse_direction_NS_24const_host_device_scalarIT2_EEPKiS6_PKS3_iiS8_S4_PS3_21rocsparse_index_base_b
                                        ; -- End function
	.set _ZN9rocsparseL22gebsrmvn_mxn_16_kernelILj84ELj12ELj7EfEEvi20rocsparse_direction_NS_24const_host_device_scalarIT2_EEPKiS6_PKS3_iiS8_S4_PS3_21rocsparse_index_base_b.num_vgpr, 13
	.set _ZN9rocsparseL22gebsrmvn_mxn_16_kernelILj84ELj12ELj7EfEEvi20rocsparse_direction_NS_24const_host_device_scalarIT2_EEPKiS6_PKS3_iiS8_S4_PS3_21rocsparse_index_base_b.num_agpr, 0
	.set _ZN9rocsparseL22gebsrmvn_mxn_16_kernelILj84ELj12ELj7EfEEvi20rocsparse_direction_NS_24const_host_device_scalarIT2_EEPKiS6_PKS3_iiS8_S4_PS3_21rocsparse_index_base_b.numbered_sgpr, 22
	.set _ZN9rocsparseL22gebsrmvn_mxn_16_kernelILj84ELj12ELj7EfEEvi20rocsparse_direction_NS_24const_host_device_scalarIT2_EEPKiS6_PKS3_iiS8_S4_PS3_21rocsparse_index_base_b.num_named_barrier, 0
	.set _ZN9rocsparseL22gebsrmvn_mxn_16_kernelILj84ELj12ELj7EfEEvi20rocsparse_direction_NS_24const_host_device_scalarIT2_EEPKiS6_PKS3_iiS8_S4_PS3_21rocsparse_index_base_b.private_seg_size, 0
	.set _ZN9rocsparseL22gebsrmvn_mxn_16_kernelILj84ELj12ELj7EfEEvi20rocsparse_direction_NS_24const_host_device_scalarIT2_EEPKiS6_PKS3_iiS8_S4_PS3_21rocsparse_index_base_b.uses_vcc, 1
	.set _ZN9rocsparseL22gebsrmvn_mxn_16_kernelILj84ELj12ELj7EfEEvi20rocsparse_direction_NS_24const_host_device_scalarIT2_EEPKiS6_PKS3_iiS8_S4_PS3_21rocsparse_index_base_b.uses_flat_scratch, 0
	.set _ZN9rocsparseL22gebsrmvn_mxn_16_kernelILj84ELj12ELj7EfEEvi20rocsparse_direction_NS_24const_host_device_scalarIT2_EEPKiS6_PKS3_iiS8_S4_PS3_21rocsparse_index_base_b.has_dyn_sized_stack, 0
	.set _ZN9rocsparseL22gebsrmvn_mxn_16_kernelILj84ELj12ELj7EfEEvi20rocsparse_direction_NS_24const_host_device_scalarIT2_EEPKiS6_PKS3_iiS8_S4_PS3_21rocsparse_index_base_b.has_recursion, 0
	.set _ZN9rocsparseL22gebsrmvn_mxn_16_kernelILj84ELj12ELj7EfEEvi20rocsparse_direction_NS_24const_host_device_scalarIT2_EEPKiS6_PKS3_iiS8_S4_PS3_21rocsparse_index_base_b.has_indirect_call, 0
	.section	.AMDGPU.csdata,"",@progbits
; Kernel info:
; codeLenInByte = 1024
; TotalNumSgprs: 26
; NumVgprs: 13
; ScratchSize: 0
; MemoryBound: 0
; FloatMode: 240
; IeeeMode: 1
; LDSByteSize: 336 bytes/workgroup (compile time only)
; SGPRBlocks: 3
; VGPRBlocks: 3
; NumSGPRsForWavesPerEU: 26
; NumVGPRsForWavesPerEU: 13
; Occupancy: 10
; WaveLimiterHint : 1
; COMPUTE_PGM_RSRC2:SCRATCH_EN: 0
; COMPUTE_PGM_RSRC2:USER_SGPR: 6
; COMPUTE_PGM_RSRC2:TRAP_HANDLER: 0
; COMPUTE_PGM_RSRC2:TGID_X_EN: 1
; COMPUTE_PGM_RSRC2:TGID_Y_EN: 0
; COMPUTE_PGM_RSRC2:TGID_Z_EN: 0
; COMPUTE_PGM_RSRC2:TIDIG_COMP_CNT: 0
	.section	.text._ZN9rocsparseL22gebsrmvn_mxn_16_kernelILj96ELj12ELj8EfEEvi20rocsparse_direction_NS_24const_host_device_scalarIT2_EEPKiS6_PKS3_iiS8_S4_PS3_21rocsparse_index_base_b,"axG",@progbits,_ZN9rocsparseL22gebsrmvn_mxn_16_kernelILj96ELj12ELj8EfEEvi20rocsparse_direction_NS_24const_host_device_scalarIT2_EEPKiS6_PKS3_iiS8_S4_PS3_21rocsparse_index_base_b,comdat
	.globl	_ZN9rocsparseL22gebsrmvn_mxn_16_kernelILj96ELj12ELj8EfEEvi20rocsparse_direction_NS_24const_host_device_scalarIT2_EEPKiS6_PKS3_iiS8_S4_PS3_21rocsparse_index_base_b ; -- Begin function _ZN9rocsparseL22gebsrmvn_mxn_16_kernelILj96ELj12ELj8EfEEvi20rocsparse_direction_NS_24const_host_device_scalarIT2_EEPKiS6_PKS3_iiS8_S4_PS3_21rocsparse_index_base_b
	.p2align	8
	.type	_ZN9rocsparseL22gebsrmvn_mxn_16_kernelILj96ELj12ELj8EfEEvi20rocsparse_direction_NS_24const_host_device_scalarIT2_EEPKiS6_PKS3_iiS8_S4_PS3_21rocsparse_index_base_b,@function
_ZN9rocsparseL22gebsrmvn_mxn_16_kernelILj96ELj12ELj8EfEEvi20rocsparse_direction_NS_24const_host_device_scalarIT2_EEPKiS6_PKS3_iiS8_S4_PS3_21rocsparse_index_base_b: ; @_ZN9rocsparseL22gebsrmvn_mxn_16_kernelILj96ELj12ELj8EfEEvi20rocsparse_direction_NS_24const_host_device_scalarIT2_EEPKiS6_PKS3_iiS8_S4_PS3_21rocsparse_index_base_b
; %bb.0:
	s_load_dwordx2 s[14:15], s[4:5], 0x48
	s_load_dwordx2 s[10:11], s[4:5], 0x8
	;; [unrolled: 1-line block ×3, first 2 shown]
	s_waitcnt lgkmcnt(0)
	s_bitcmp1_b32 s15, 0
	s_cselect_b64 s[2:3], -1, 0
	s_xor_b64 s[0:1], s[2:3], -1
	s_and_b64 vcc, exec, s[2:3]
	s_cbranch_vccnz .LBB33_2
; %bb.1:
	s_load_dword s10, s[10:11], 0x0
.LBB33_2:
	s_andn2_b64 vcc, exec, s[0:1]
	s_cbranch_vccnz .LBB33_4
; %bb.3:
	s_load_dword s8, s[8:9], 0x0
.LBB33_4:
	s_waitcnt lgkmcnt(0)
	v_cmp_eq_f32_e64 s[0:1], s10, 0
	v_cmp_eq_f32_e64 s[2:3], s8, 1.0
	s_and_b64 s[0:1], s[0:1], s[2:3]
	s_and_b64 vcc, exec, s[0:1]
	s_cbranch_vccnz .LBB33_36
; %bb.5:
	s_load_dword s2, s[4:5], 0x4
	s_load_dwordx2 s[0:1], s[4:5], 0x10
	v_and_b32_e32 v6, 7, v0
	v_mov_b32_e32 v7, v6
	s_waitcnt lgkmcnt(0)
	s_cmp_lg_u32 s2, 1
	s_cselect_b64 s[16:17], -1, 0
	s_and_b64 vcc, exec, s[16:17]
	s_cbranch_vccnz .LBB33_7
; %bb.6:
	v_mul_u32_u24_e32 v1, 0x1556, v0
	v_bfe_u32 v7, v1, 16, 3
.LBB33_7:
	s_ashr_i32 s7, s6, 31
	s_lshl_b64 s[2:3], s[6:7], 2
	s_add_u32 s0, s0, s2
	s_addc_u32 s1, s1, s3
	s_load_dwordx2 s[20:21], s[0:1], 0x0
	s_load_dwordx2 s[12:13], s[4:5], 0x40
	v_mov_b32_e32 v5, 0
	s_waitcnt lgkmcnt(0)
	s_cmp_ge_i32 s20, s21
	s_cbranch_scc1 .LBB33_12
; %bb.8:
	s_load_dwordx4 s[0:3], s[4:5], 0x18
	s_load_dwordx2 s[18:19], s[4:5], 0x30
	s_mul_i32 s4, s20, 0x60
	v_add_u32_e32 v1, s4, v0
	s_mul_i32 s4, s14, 0x60
	v_mov_b32_e32 v2, 0
	s_sub_i32 s7, s21, s14
	s_sub_i32 s9, s20, s14
	v_mul_u32_u24_e32 v8, 0x2ab, v0
	v_subrev_u32_e32 v1, s4, v1
	v_mov_b32_e32 v5, v2
	s_branch .LBB33_10
.LBB33_9:                               ;   in Loop: Header=BB33_10 Depth=1
	s_or_b64 exec, exec, s[4:5]
	s_add_i32 s9, s9, 1
	s_cmp_ge_i32 s9, s7
	v_add_u32_e32 v1, 0x60, v1
	s_cbranch_scc1 .LBB33_12
.LBB33_10:                              ; =>This Inner Loop Header: Depth=1
	v_add_u32_sdwa v3, v8, s9 dst_sel:DWORD dst_unused:UNUSED_PAD src0_sel:WORD_1 src1_sel:DWORD
	v_cmp_gt_i32_e32 vcc, s7, v3
	s_and_saveexec_b64 s[4:5], vcc
	s_cbranch_execz .LBB33_9
; %bb.11:                               ;   in Loop: Header=BB33_10 Depth=1
	v_ashrrev_i32_e32 v4, 31, v3
	v_lshlrev_b64 v[3:4], 2, v[3:4]
	s_waitcnt lgkmcnt(0)
	v_mov_b32_e32 v9, s1
	v_add_co_u32_e32 v3, vcc, s0, v3
	v_addc_co_u32_e32 v4, vcc, v9, v4, vcc
	global_load_dword v9, v[3:4], off
	v_lshlrev_b64 v[3:4], 2, v[1:2]
	v_mov_b32_e32 v10, s3
	v_add_co_u32_e32 v3, vcc, s2, v3
	v_addc_co_u32_e32 v4, vcc, v10, v4, vcc
	global_load_dword v10, v[3:4], off
	v_mov_b32_e32 v11, s19
	s_waitcnt vmcnt(1)
	v_subrev_u32_e32 v3, s14, v9
	v_lshl_or_b32 v3, v3, 3, v7
	v_ashrrev_i32_e32 v4, 31, v3
	v_lshlrev_b64 v[3:4], 2, v[3:4]
	v_add_co_u32_e32 v3, vcc, s18, v3
	v_addc_co_u32_e32 v4, vcc, v11, v4, vcc
	global_load_dword v3, v[3:4], off
	s_waitcnt vmcnt(0)
	v_fmac_f32_e32 v5, v10, v3
	s_branch .LBB33_9
.LBB33_12:
	v_lshlrev_b32_e32 v1, 2, v0
	s_and_b64 vcc, exec, s[16:17]
	ds_write_b32 v1, v5
	s_waitcnt lgkmcnt(0)
	s_barrier
	s_cbranch_vccz .LBB33_22
; %bb.13:
	v_cmp_gt_u32_e32 vcc, 4, v6
	s_and_saveexec_b64 s[0:1], vcc
	s_cbranch_execz .LBB33_15
; %bb.14:
	ds_read2_b32 v[2:3], v1 offset1:4
	s_waitcnt lgkmcnt(0)
	v_add_f32_e32 v2, v3, v2
	ds_write_b32 v1, v2
.LBB33_15:
	s_or_b64 exec, exec, s[0:1]
	v_cmp_gt_u32_e32 vcc, 2, v6
	s_waitcnt lgkmcnt(0)
	s_barrier
	s_and_saveexec_b64 s[0:1], vcc
	s_cbranch_execz .LBB33_17
; %bb.16:
	ds_read2_b32 v[2:3], v1 offset1:2
	s_waitcnt lgkmcnt(0)
	v_add_f32_e32 v2, v3, v2
	ds_write_b32 v1, v2
.LBB33_17:
	s_or_b64 exec, exec, s[0:1]
	v_cmp_eq_u32_e32 vcc, 0, v6
	s_waitcnt lgkmcnt(0)
	s_barrier
	s_and_saveexec_b64 s[0:1], vcc
	s_cbranch_execz .LBB33_19
; %bb.18:
	ds_read2_b32 v[2:3], v1 offset1:1
	s_waitcnt lgkmcnt(0)
	v_add_f32_e32 v2, v3, v2
	ds_write_b32 v1, v2
.LBB33_19:
	s_or_b64 exec, exec, s[0:1]
	v_cmp_gt_u32_e32 vcc, 12, v0
	v_mov_b32_e32 v2, v5
	s_waitcnt lgkmcnt(0)
	s_barrier
	s_and_saveexec_b64 s[0:1], vcc
; %bb.20:
	v_mad_u32_u24 v2, v0, 28, v1
	ds_read_b32 v2, v2
; %bb.21:
	s_or_b64 exec, exec, s[0:1]
	s_branch .LBB33_32
.LBB33_22:
                                        ; implicit-def: $vgpr2
	s_cbranch_execz .LBB33_32
; %bb.23:
	v_cmp_gt_u32_e32 vcc, 48, v0
	s_and_saveexec_b64 s[0:1], vcc
	s_cbranch_execz .LBB33_25
; %bb.24:
	s_waitcnt lgkmcnt(0)
	ds_read2_b32 v[2:3], v1 offset1:48
	s_waitcnt lgkmcnt(0)
	v_add_f32_e32 v2, v3, v2
	ds_write_b32 v1, v2
.LBB33_25:
	s_or_b64 exec, exec, s[0:1]
	v_cmp_gt_u32_e32 vcc, 24, v0
	s_waitcnt lgkmcnt(0)
	s_barrier
	s_and_saveexec_b64 s[0:1], vcc
	s_cbranch_execz .LBB33_27
; %bb.26:
	ds_read2_b32 v[2:3], v1 offset1:24
	s_waitcnt lgkmcnt(0)
	v_add_f32_e32 v2, v3, v2
	ds_write_b32 v1, v2
.LBB33_27:
	s_or_b64 exec, exec, s[0:1]
	v_cmp_lt_u32_e32 vcc, 11, v0
	s_waitcnt lgkmcnt(0)
	s_and_saveexec_b64 s[0:1], vcc
	s_xor_b64 s[0:1], exec, s[0:1]
; %bb.28:
                                        ; implicit-def: $vgpr1
; %bb.29:
	s_andn2_saveexec_b64 s[0:1], s[0:1]
	s_cbranch_execz .LBB33_31
; %bb.30:
	ds_read2_b32 v[2:3], v1 offset1:12
	s_waitcnt lgkmcnt(0)
	v_add_f32_e32 v2, v3, v2
	ds_write_b32 v1, v2
	s_waitcnt lgkmcnt(0)
	ds_read_b32 v5, v1
.LBB33_31:
	s_or_b64 exec, exec, s[0:1]
	s_waitcnt lgkmcnt(0)
	v_mov_b32_e32 v2, v5
.LBB33_32:
	v_cmp_gt_u32_e32 vcc, 12, v0
	s_and_saveexec_b64 s[0:1], vcc
	s_cbranch_execz .LBB33_36
; %bb.33:
	v_cmp_eq_f32_e64 s[0:1], s8, 0
	s_and_b64 vcc, exec, s[0:1]
	s_waitcnt lgkmcnt(0)
	v_mul_f32_e32 v1, s10, v2
	s_cbranch_vccz .LBB33_37
; %bb.34:
	v_mad_u64_u32 v[2:3], s[0:1], s6, 12, v[0:1]
	v_mov_b32_e32 v3, 0
	v_mov_b32_e32 v4, s13
	v_lshlrev_b64 v[2:3], 2, v[2:3]
	v_add_co_u32_e32 v2, vcc, s12, v2
	v_addc_co_u32_e32 v3, vcc, v4, v3, vcc
	global_store_dword v[2:3], v1, off
	s_cbranch_execnz .LBB33_36
.LBB33_35:
	v_mad_u64_u32 v[2:3], s[0:1], s6, 12, v[0:1]
	v_mov_b32_e32 v3, 0
	v_mov_b32_e32 v0, s13
	v_lshlrev_b64 v[2:3], 2, v[2:3]
	v_add_co_u32_e32 v2, vcc, s12, v2
	v_addc_co_u32_e32 v3, vcc, v0, v3, vcc
	global_load_dword v0, v[2:3], off
	s_waitcnt vmcnt(0)
	v_fmac_f32_e32 v1, s8, v0
	global_store_dword v[2:3], v1, off
.LBB33_36:
	s_endpgm
.LBB33_37:
	s_branch .LBB33_35
	.section	.rodata,"a",@progbits
	.p2align	6, 0x0
	.amdhsa_kernel _ZN9rocsparseL22gebsrmvn_mxn_16_kernelILj96ELj12ELj8EfEEvi20rocsparse_direction_NS_24const_host_device_scalarIT2_EEPKiS6_PKS3_iiS8_S4_PS3_21rocsparse_index_base_b
		.amdhsa_group_segment_fixed_size 384
		.amdhsa_private_segment_fixed_size 0
		.amdhsa_kernarg_size 80
		.amdhsa_user_sgpr_count 6
		.amdhsa_user_sgpr_private_segment_buffer 1
		.amdhsa_user_sgpr_dispatch_ptr 0
		.amdhsa_user_sgpr_queue_ptr 0
		.amdhsa_user_sgpr_kernarg_segment_ptr 1
		.amdhsa_user_sgpr_dispatch_id 0
		.amdhsa_user_sgpr_flat_scratch_init 0
		.amdhsa_user_sgpr_private_segment_size 0
		.amdhsa_uses_dynamic_stack 0
		.amdhsa_system_sgpr_private_segment_wavefront_offset 0
		.amdhsa_system_sgpr_workgroup_id_x 1
		.amdhsa_system_sgpr_workgroup_id_y 0
		.amdhsa_system_sgpr_workgroup_id_z 0
		.amdhsa_system_sgpr_workgroup_info 0
		.amdhsa_system_vgpr_workitem_id 0
		.amdhsa_next_free_vgpr 12
		.amdhsa_next_free_sgpr 22
		.amdhsa_reserve_vcc 1
		.amdhsa_reserve_flat_scratch 0
		.amdhsa_float_round_mode_32 0
		.amdhsa_float_round_mode_16_64 0
		.amdhsa_float_denorm_mode_32 3
		.amdhsa_float_denorm_mode_16_64 3
		.amdhsa_dx10_clamp 1
		.amdhsa_ieee_mode 1
		.amdhsa_fp16_overflow 0
		.amdhsa_exception_fp_ieee_invalid_op 0
		.amdhsa_exception_fp_denorm_src 0
		.amdhsa_exception_fp_ieee_div_zero 0
		.amdhsa_exception_fp_ieee_overflow 0
		.amdhsa_exception_fp_ieee_underflow 0
		.amdhsa_exception_fp_ieee_inexact 0
		.amdhsa_exception_int_div_zero 0
	.end_amdhsa_kernel
	.section	.text._ZN9rocsparseL22gebsrmvn_mxn_16_kernelILj96ELj12ELj8EfEEvi20rocsparse_direction_NS_24const_host_device_scalarIT2_EEPKiS6_PKS3_iiS8_S4_PS3_21rocsparse_index_base_b,"axG",@progbits,_ZN9rocsparseL22gebsrmvn_mxn_16_kernelILj96ELj12ELj8EfEEvi20rocsparse_direction_NS_24const_host_device_scalarIT2_EEPKiS6_PKS3_iiS8_S4_PS3_21rocsparse_index_base_b,comdat
.Lfunc_end33:
	.size	_ZN9rocsparseL22gebsrmvn_mxn_16_kernelILj96ELj12ELj8EfEEvi20rocsparse_direction_NS_24const_host_device_scalarIT2_EEPKiS6_PKS3_iiS8_S4_PS3_21rocsparse_index_base_b, .Lfunc_end33-_ZN9rocsparseL22gebsrmvn_mxn_16_kernelILj96ELj12ELj8EfEEvi20rocsparse_direction_NS_24const_host_device_scalarIT2_EEPKiS6_PKS3_iiS8_S4_PS3_21rocsparse_index_base_b
                                        ; -- End function
	.set _ZN9rocsparseL22gebsrmvn_mxn_16_kernelILj96ELj12ELj8EfEEvi20rocsparse_direction_NS_24const_host_device_scalarIT2_EEPKiS6_PKS3_iiS8_S4_PS3_21rocsparse_index_base_b.num_vgpr, 12
	.set _ZN9rocsparseL22gebsrmvn_mxn_16_kernelILj96ELj12ELj8EfEEvi20rocsparse_direction_NS_24const_host_device_scalarIT2_EEPKiS6_PKS3_iiS8_S4_PS3_21rocsparse_index_base_b.num_agpr, 0
	.set _ZN9rocsparseL22gebsrmvn_mxn_16_kernelILj96ELj12ELj8EfEEvi20rocsparse_direction_NS_24const_host_device_scalarIT2_EEPKiS6_PKS3_iiS8_S4_PS3_21rocsparse_index_base_b.numbered_sgpr, 22
	.set _ZN9rocsparseL22gebsrmvn_mxn_16_kernelILj96ELj12ELj8EfEEvi20rocsparse_direction_NS_24const_host_device_scalarIT2_EEPKiS6_PKS3_iiS8_S4_PS3_21rocsparse_index_base_b.num_named_barrier, 0
	.set _ZN9rocsparseL22gebsrmvn_mxn_16_kernelILj96ELj12ELj8EfEEvi20rocsparse_direction_NS_24const_host_device_scalarIT2_EEPKiS6_PKS3_iiS8_S4_PS3_21rocsparse_index_base_b.private_seg_size, 0
	.set _ZN9rocsparseL22gebsrmvn_mxn_16_kernelILj96ELj12ELj8EfEEvi20rocsparse_direction_NS_24const_host_device_scalarIT2_EEPKiS6_PKS3_iiS8_S4_PS3_21rocsparse_index_base_b.uses_vcc, 1
	.set _ZN9rocsparseL22gebsrmvn_mxn_16_kernelILj96ELj12ELj8EfEEvi20rocsparse_direction_NS_24const_host_device_scalarIT2_EEPKiS6_PKS3_iiS8_S4_PS3_21rocsparse_index_base_b.uses_flat_scratch, 0
	.set _ZN9rocsparseL22gebsrmvn_mxn_16_kernelILj96ELj12ELj8EfEEvi20rocsparse_direction_NS_24const_host_device_scalarIT2_EEPKiS6_PKS3_iiS8_S4_PS3_21rocsparse_index_base_b.has_dyn_sized_stack, 0
	.set _ZN9rocsparseL22gebsrmvn_mxn_16_kernelILj96ELj12ELj8EfEEvi20rocsparse_direction_NS_24const_host_device_scalarIT2_EEPKiS6_PKS3_iiS8_S4_PS3_21rocsparse_index_base_b.has_recursion, 0
	.set _ZN9rocsparseL22gebsrmvn_mxn_16_kernelILj96ELj12ELj8EfEEvi20rocsparse_direction_NS_24const_host_device_scalarIT2_EEPKiS6_PKS3_iiS8_S4_PS3_21rocsparse_index_base_b.has_indirect_call, 0
	.section	.AMDGPU.csdata,"",@progbits
; Kernel info:
; codeLenInByte = 968
; TotalNumSgprs: 26
; NumVgprs: 12
; ScratchSize: 0
; MemoryBound: 0
; FloatMode: 240
; IeeeMode: 1
; LDSByteSize: 384 bytes/workgroup (compile time only)
; SGPRBlocks: 3
; VGPRBlocks: 2
; NumSGPRsForWavesPerEU: 26
; NumVGPRsForWavesPerEU: 12
; Occupancy: 10
; WaveLimiterHint : 1
; COMPUTE_PGM_RSRC2:SCRATCH_EN: 0
; COMPUTE_PGM_RSRC2:USER_SGPR: 6
; COMPUTE_PGM_RSRC2:TRAP_HANDLER: 0
; COMPUTE_PGM_RSRC2:TGID_X_EN: 1
; COMPUTE_PGM_RSRC2:TGID_Y_EN: 0
; COMPUTE_PGM_RSRC2:TGID_Z_EN: 0
; COMPUTE_PGM_RSRC2:TIDIG_COMP_CNT: 0
	.section	.text._ZN9rocsparseL22gebsrmvn_mxn_16_kernelILj63ELj9ELj1EdEEvi20rocsparse_direction_NS_24const_host_device_scalarIT2_EEPKiS6_PKS3_iiS8_S4_PS3_21rocsparse_index_base_b,"axG",@progbits,_ZN9rocsparseL22gebsrmvn_mxn_16_kernelILj63ELj9ELj1EdEEvi20rocsparse_direction_NS_24const_host_device_scalarIT2_EEPKiS6_PKS3_iiS8_S4_PS3_21rocsparse_index_base_b,comdat
	.globl	_ZN9rocsparseL22gebsrmvn_mxn_16_kernelILj63ELj9ELj1EdEEvi20rocsparse_direction_NS_24const_host_device_scalarIT2_EEPKiS6_PKS3_iiS8_S4_PS3_21rocsparse_index_base_b ; -- Begin function _ZN9rocsparseL22gebsrmvn_mxn_16_kernelILj63ELj9ELj1EdEEvi20rocsparse_direction_NS_24const_host_device_scalarIT2_EEPKiS6_PKS3_iiS8_S4_PS3_21rocsparse_index_base_b
	.p2align	8
	.type	_ZN9rocsparseL22gebsrmvn_mxn_16_kernelILj63ELj9ELj1EdEEvi20rocsparse_direction_NS_24const_host_device_scalarIT2_EEPKiS6_PKS3_iiS8_S4_PS3_21rocsparse_index_base_b,@function
_ZN9rocsparseL22gebsrmvn_mxn_16_kernelILj63ELj9ELj1EdEEvi20rocsparse_direction_NS_24const_host_device_scalarIT2_EEPKiS6_PKS3_iiS8_S4_PS3_21rocsparse_index_base_b: ; @_ZN9rocsparseL22gebsrmvn_mxn_16_kernelILj63ELj9ELj1EdEEvi20rocsparse_direction_NS_24const_host_device_scalarIT2_EEPKiS6_PKS3_iiS8_S4_PS3_21rocsparse_index_base_b
; %bb.0:
	s_load_dwordx2 s[10:11], s[4:5], 0x48
	s_load_dwordx2 s[8:9], s[4:5], 0x8
	s_load_dwordx2 s[0:1], s[4:5], 0x38
	s_waitcnt lgkmcnt(0)
	s_bitcmp1_b32 s11, 0
	s_cselect_b64 s[12:13], -1, 0
	v_mov_b32_e32 v3, s8
	s_xor_b64 s[2:3], s[12:13], -1
	s_and_b64 vcc, exec, s[12:13]
	v_mov_b32_e32 v4, s9
	s_cbranch_vccnz .LBB34_2
; %bb.1:
	v_mov_b32_e32 v1, s8
	v_mov_b32_e32 v2, s9
	flat_load_dwordx2 v[3:4], v[1:2]
.LBB34_2:
	v_mov_b32_e32 v2, s1
	s_andn2_b64 vcc, exec, s[2:3]
	v_mov_b32_e32 v1, s0
	s_cbranch_vccnz .LBB34_4
; %bb.3:
	v_mov_b32_e32 v2, s1
	v_mov_b32_e32 v1, s0
	flat_load_dwordx2 v[1:2], v[1:2]
.LBB34_4:
	s_waitcnt vmcnt(0) lgkmcnt(0)
	v_cmp_neq_f64_e32 vcc, 0, v[3:4]
	v_cmp_neq_f64_e64 s[0:1], 1.0, v[1:2]
	s_or_b64 s[0:1], vcc, s[0:1]
	s_and_saveexec_b64 s[2:3], s[0:1]
	s_cbranch_execz .LBB34_24
; %bb.5:
	s_load_dwordx2 s[0:1], s[4:5], 0x10
	s_ashr_i32 s7, s6, 31
	s_lshl_b64 s[2:3], s[6:7], 2
	s_waitcnt lgkmcnt(0)
	s_add_u32 s0, s0, s2
	s_addc_u32 s1, s1, s3
	s_load_dwordx2 s[14:15], s[0:1], 0x0
	s_waitcnt lgkmcnt(0)
	s_cmp_lt_i32 s14, s15
	s_cbranch_scc1 .LBB34_7
; %bb.6:
	s_mov_b64 s[0:1], 0
	s_branch .LBB34_8
.LBB34_7:
	s_mov_b64 s[0:1], -1
.LBB34_8:
	s_load_dwordx2 s[8:9], s[4:5], 0x40
	v_mov_b32_e32 v5, 0
	v_mov_b32_e32 v6, 0
	s_andn2_b64 vcc, exec, s[0:1]
	s_cbranch_vccnz .LBB34_13
; %bb.9:
	s_load_dwordx4 s[0:3], s[4:5], 0x18
	s_load_dwordx2 s[12:13], s[4:5], 0x30
	v_mad_u64_u32 v[5:6], s[4:5], s14, 9, v[0:1]
	s_mul_i32 s4, s10, 9
	s_sub_i32 s7, s15, s10
	v_subrev_u32_e32 v7, s4, v5
	v_mov_b32_e32 v5, 0
	s_sub_i32 s11, s14, s10
	v_mul_u32_u24_e32 v11, 0x1c72, v0
	v_mov_b32_e32 v6, 0
	v_mov_b32_e32 v8, 0
	s_branch .LBB34_11
.LBB34_10:                              ;   in Loop: Header=BB34_11 Depth=1
	s_or_b64 exec, exec, s[4:5]
	s_add_i32 s11, s11, 7
	s_cmp_ge_i32 s11, s7
	v_add_u32_e32 v7, 63, v7
	s_cbranch_scc1 .LBB34_13
.LBB34_11:                              ; =>This Inner Loop Header: Depth=1
	v_add_u32_sdwa v9, v11, s11 dst_sel:DWORD dst_unused:UNUSED_PAD src0_sel:WORD_1 src1_sel:DWORD
	v_cmp_gt_i32_e32 vcc, s7, v9
	s_and_saveexec_b64 s[4:5], vcc
	s_cbranch_execz .LBB34_10
; %bb.12:                               ;   in Loop: Header=BB34_11 Depth=1
	v_ashrrev_i32_e32 v10, 31, v9
	v_lshlrev_b64 v[9:10], 2, v[9:10]
	s_waitcnt lgkmcnt(0)
	v_mov_b32_e32 v12, s1
	v_add_co_u32_e32 v9, vcc, s0, v9
	v_addc_co_u32_e32 v10, vcc, v12, v10, vcc
	global_load_dword v12, v[9:10], off
	v_lshlrev_b64 v[9:10], 3, v[7:8]
	v_mov_b32_e32 v13, s3
	v_add_co_u32_e32 v9, vcc, s2, v9
	v_addc_co_u32_e32 v10, vcc, v13, v10, vcc
	v_mov_b32_e32 v14, s13
	global_load_dwordx2 v[9:10], v[9:10], off
	s_waitcnt vmcnt(1)
	v_subrev_u32_e32 v12, s10, v12
	v_ashrrev_i32_e32 v13, 31, v12
	v_lshlrev_b64 v[12:13], 3, v[12:13]
	v_add_co_u32_e32 v12, vcc, s12, v12
	v_addc_co_u32_e32 v13, vcc, v14, v13, vcc
	global_load_dwordx2 v[12:13], v[12:13], off
	s_waitcnt vmcnt(0)
	v_fma_f64 v[5:6], v[9:10], v[12:13], v[5:6]
	s_branch .LBB34_10
.LBB34_13:
	v_lshlrev_b32_e32 v7, 3, v0
	v_cmp_gt_u32_e32 vcc, 27, v0
	ds_write_b64 v7, v[5:6]
	s_waitcnt lgkmcnt(0)
	; wave barrier
	s_and_saveexec_b64 s[0:1], vcc
	s_cbranch_execz .LBB34_15
; %bb.14:
	ds_read2_b64 v[8:11], v7 offset1:36
	s_waitcnt lgkmcnt(0)
	v_add_f64 v[5:6], v[10:11], v[8:9]
	ds_write_b64 v7, v[5:6]
.LBB34_15:
	s_or_b64 exec, exec, s[0:1]
	v_cmp_gt_u32_e32 vcc, 18, v0
	s_waitcnt lgkmcnt(0)
	; wave barrier
	s_and_saveexec_b64 s[0:1], vcc
	s_cbranch_execz .LBB34_17
; %bb.16:
	ds_read2_b64 v[8:11], v7 offset1:18
	s_waitcnt lgkmcnt(0)
	v_add_f64 v[5:6], v[10:11], v[8:9]
	ds_write_b64 v7, v[5:6]
.LBB34_17:
	s_or_b64 exec, exec, s[0:1]
	v_cmp_gt_u32_e32 vcc, 9, v0
	s_waitcnt lgkmcnt(0)
	; wave barrier
	s_and_saveexec_b64 s[0:1], vcc
	s_cbranch_execz .LBB34_19
; %bb.18:
	ds_read2_b64 v[8:11], v7 offset1:9
	s_waitcnt lgkmcnt(0)
	v_add_f64 v[5:6], v[10:11], v[8:9]
	ds_write_b64 v7, v[5:6]
.LBB34_19:
	s_or_b64 exec, exec, s[0:1]
	s_waitcnt lgkmcnt(0)
	; wave barrier
	s_and_b64 exec, exec, vcc
	s_cbranch_execz .LBB34_24
; %bb.20:
	ds_read_b64 v[5:6], v7
	v_cmp_eq_f64_e32 vcc, 0, v[1:2]
	s_waitcnt lgkmcnt(0)
	v_mul_f64 v[3:4], v[3:4], v[5:6]
	s_and_saveexec_b64 s[0:1], vcc
	s_xor_b64 s[0:1], exec, s[0:1]
	s_cbranch_execz .LBB34_22
; %bb.21:
	v_mad_u64_u32 v[0:1], s[2:3], s6, 9, v[0:1]
	v_mov_b32_e32 v1, 0
	v_mov_b32_e32 v2, s9
	v_lshlrev_b64 v[0:1], 3, v[0:1]
	v_add_co_u32_e32 v0, vcc, s8, v0
	v_addc_co_u32_e32 v1, vcc, v2, v1, vcc
	global_store_dwordx2 v[0:1], v[3:4], off
                                        ; implicit-def: $vgpr0
                                        ; implicit-def: $vgpr1_vgpr2
                                        ; implicit-def: $vgpr3_vgpr4
.LBB34_22:
	s_andn2_saveexec_b64 s[0:1], s[0:1]
	s_cbranch_execz .LBB34_24
; %bb.23:
	v_mad_u64_u32 v[5:6], s[0:1], s6, 9, v[0:1]
	v_mov_b32_e32 v6, 0
	v_mov_b32_e32 v0, s9
	v_lshlrev_b64 v[5:6], 3, v[5:6]
	v_add_co_u32_e32 v5, vcc, s8, v5
	v_addc_co_u32_e32 v6, vcc, v0, v6, vcc
	global_load_dwordx2 v[7:8], v[5:6], off
	s_waitcnt vmcnt(0)
	v_fma_f64 v[0:1], v[1:2], v[7:8], v[3:4]
	global_store_dwordx2 v[5:6], v[0:1], off
.LBB34_24:
	s_endpgm
	.section	.rodata,"a",@progbits
	.p2align	6, 0x0
	.amdhsa_kernel _ZN9rocsparseL22gebsrmvn_mxn_16_kernelILj63ELj9ELj1EdEEvi20rocsparse_direction_NS_24const_host_device_scalarIT2_EEPKiS6_PKS3_iiS8_S4_PS3_21rocsparse_index_base_b
		.amdhsa_group_segment_fixed_size 504
		.amdhsa_private_segment_fixed_size 0
		.amdhsa_kernarg_size 80
		.amdhsa_user_sgpr_count 6
		.amdhsa_user_sgpr_private_segment_buffer 1
		.amdhsa_user_sgpr_dispatch_ptr 0
		.amdhsa_user_sgpr_queue_ptr 0
		.amdhsa_user_sgpr_kernarg_segment_ptr 1
		.amdhsa_user_sgpr_dispatch_id 0
		.amdhsa_user_sgpr_flat_scratch_init 0
		.amdhsa_user_sgpr_private_segment_size 0
		.amdhsa_uses_dynamic_stack 0
		.amdhsa_system_sgpr_private_segment_wavefront_offset 0
		.amdhsa_system_sgpr_workgroup_id_x 1
		.amdhsa_system_sgpr_workgroup_id_y 0
		.amdhsa_system_sgpr_workgroup_id_z 0
		.amdhsa_system_sgpr_workgroup_info 0
		.amdhsa_system_vgpr_workitem_id 0
		.amdhsa_next_free_vgpr 15
		.amdhsa_next_free_sgpr 16
		.amdhsa_reserve_vcc 1
		.amdhsa_reserve_flat_scratch 0
		.amdhsa_float_round_mode_32 0
		.amdhsa_float_round_mode_16_64 0
		.amdhsa_float_denorm_mode_32 3
		.amdhsa_float_denorm_mode_16_64 3
		.amdhsa_dx10_clamp 1
		.amdhsa_ieee_mode 1
		.amdhsa_fp16_overflow 0
		.amdhsa_exception_fp_ieee_invalid_op 0
		.amdhsa_exception_fp_denorm_src 0
		.amdhsa_exception_fp_ieee_div_zero 0
		.amdhsa_exception_fp_ieee_overflow 0
		.amdhsa_exception_fp_ieee_underflow 0
		.amdhsa_exception_fp_ieee_inexact 0
		.amdhsa_exception_int_div_zero 0
	.end_amdhsa_kernel
	.section	.text._ZN9rocsparseL22gebsrmvn_mxn_16_kernelILj63ELj9ELj1EdEEvi20rocsparse_direction_NS_24const_host_device_scalarIT2_EEPKiS6_PKS3_iiS8_S4_PS3_21rocsparse_index_base_b,"axG",@progbits,_ZN9rocsparseL22gebsrmvn_mxn_16_kernelILj63ELj9ELj1EdEEvi20rocsparse_direction_NS_24const_host_device_scalarIT2_EEPKiS6_PKS3_iiS8_S4_PS3_21rocsparse_index_base_b,comdat
.Lfunc_end34:
	.size	_ZN9rocsparseL22gebsrmvn_mxn_16_kernelILj63ELj9ELj1EdEEvi20rocsparse_direction_NS_24const_host_device_scalarIT2_EEPKiS6_PKS3_iiS8_S4_PS3_21rocsparse_index_base_b, .Lfunc_end34-_ZN9rocsparseL22gebsrmvn_mxn_16_kernelILj63ELj9ELj1EdEEvi20rocsparse_direction_NS_24const_host_device_scalarIT2_EEPKiS6_PKS3_iiS8_S4_PS3_21rocsparse_index_base_b
                                        ; -- End function
	.set _ZN9rocsparseL22gebsrmvn_mxn_16_kernelILj63ELj9ELj1EdEEvi20rocsparse_direction_NS_24const_host_device_scalarIT2_EEPKiS6_PKS3_iiS8_S4_PS3_21rocsparse_index_base_b.num_vgpr, 15
	.set _ZN9rocsparseL22gebsrmvn_mxn_16_kernelILj63ELj9ELj1EdEEvi20rocsparse_direction_NS_24const_host_device_scalarIT2_EEPKiS6_PKS3_iiS8_S4_PS3_21rocsparse_index_base_b.num_agpr, 0
	.set _ZN9rocsparseL22gebsrmvn_mxn_16_kernelILj63ELj9ELj1EdEEvi20rocsparse_direction_NS_24const_host_device_scalarIT2_EEPKiS6_PKS3_iiS8_S4_PS3_21rocsparse_index_base_b.numbered_sgpr, 16
	.set _ZN9rocsparseL22gebsrmvn_mxn_16_kernelILj63ELj9ELj1EdEEvi20rocsparse_direction_NS_24const_host_device_scalarIT2_EEPKiS6_PKS3_iiS8_S4_PS3_21rocsparse_index_base_b.num_named_barrier, 0
	.set _ZN9rocsparseL22gebsrmvn_mxn_16_kernelILj63ELj9ELj1EdEEvi20rocsparse_direction_NS_24const_host_device_scalarIT2_EEPKiS6_PKS3_iiS8_S4_PS3_21rocsparse_index_base_b.private_seg_size, 0
	.set _ZN9rocsparseL22gebsrmvn_mxn_16_kernelILj63ELj9ELj1EdEEvi20rocsparse_direction_NS_24const_host_device_scalarIT2_EEPKiS6_PKS3_iiS8_S4_PS3_21rocsparse_index_base_b.uses_vcc, 1
	.set _ZN9rocsparseL22gebsrmvn_mxn_16_kernelILj63ELj9ELj1EdEEvi20rocsparse_direction_NS_24const_host_device_scalarIT2_EEPKiS6_PKS3_iiS8_S4_PS3_21rocsparse_index_base_b.uses_flat_scratch, 0
	.set _ZN9rocsparseL22gebsrmvn_mxn_16_kernelILj63ELj9ELj1EdEEvi20rocsparse_direction_NS_24const_host_device_scalarIT2_EEPKiS6_PKS3_iiS8_S4_PS3_21rocsparse_index_base_b.has_dyn_sized_stack, 0
	.set _ZN9rocsparseL22gebsrmvn_mxn_16_kernelILj63ELj9ELj1EdEEvi20rocsparse_direction_NS_24const_host_device_scalarIT2_EEPKiS6_PKS3_iiS8_S4_PS3_21rocsparse_index_base_b.has_recursion, 0
	.set _ZN9rocsparseL22gebsrmvn_mxn_16_kernelILj63ELj9ELj1EdEEvi20rocsparse_direction_NS_24const_host_device_scalarIT2_EEPKiS6_PKS3_iiS8_S4_PS3_21rocsparse_index_base_b.has_indirect_call, 0
	.section	.AMDGPU.csdata,"",@progbits
; Kernel info:
; codeLenInByte = 756
; TotalNumSgprs: 20
; NumVgprs: 15
; ScratchSize: 0
; MemoryBound: 0
; FloatMode: 240
; IeeeMode: 1
; LDSByteSize: 504 bytes/workgroup (compile time only)
; SGPRBlocks: 2
; VGPRBlocks: 3
; NumSGPRsForWavesPerEU: 20
; NumVGPRsForWavesPerEU: 15
; Occupancy: 10
; WaveLimiterHint : 1
; COMPUTE_PGM_RSRC2:SCRATCH_EN: 0
; COMPUTE_PGM_RSRC2:USER_SGPR: 6
; COMPUTE_PGM_RSRC2:TRAP_HANDLER: 0
; COMPUTE_PGM_RSRC2:TGID_X_EN: 1
; COMPUTE_PGM_RSRC2:TGID_Y_EN: 0
; COMPUTE_PGM_RSRC2:TGID_Z_EN: 0
; COMPUTE_PGM_RSRC2:TIDIG_COMP_CNT: 0
	.section	.text._ZN9rocsparseL22gebsrmvn_mxn_16_kernelILj54ELj9ELj2EdEEvi20rocsparse_direction_NS_24const_host_device_scalarIT2_EEPKiS6_PKS3_iiS8_S4_PS3_21rocsparse_index_base_b,"axG",@progbits,_ZN9rocsparseL22gebsrmvn_mxn_16_kernelILj54ELj9ELj2EdEEvi20rocsparse_direction_NS_24const_host_device_scalarIT2_EEPKiS6_PKS3_iiS8_S4_PS3_21rocsparse_index_base_b,comdat
	.globl	_ZN9rocsparseL22gebsrmvn_mxn_16_kernelILj54ELj9ELj2EdEEvi20rocsparse_direction_NS_24const_host_device_scalarIT2_EEPKiS6_PKS3_iiS8_S4_PS3_21rocsparse_index_base_b ; -- Begin function _ZN9rocsparseL22gebsrmvn_mxn_16_kernelILj54ELj9ELj2EdEEvi20rocsparse_direction_NS_24const_host_device_scalarIT2_EEPKiS6_PKS3_iiS8_S4_PS3_21rocsparse_index_base_b
	.p2align	8
	.type	_ZN9rocsparseL22gebsrmvn_mxn_16_kernelILj54ELj9ELj2EdEEvi20rocsparse_direction_NS_24const_host_device_scalarIT2_EEPKiS6_PKS3_iiS8_S4_PS3_21rocsparse_index_base_b,@function
_ZN9rocsparseL22gebsrmvn_mxn_16_kernelILj54ELj9ELj2EdEEvi20rocsparse_direction_NS_24const_host_device_scalarIT2_EEPKiS6_PKS3_iiS8_S4_PS3_21rocsparse_index_base_b: ; @_ZN9rocsparseL22gebsrmvn_mxn_16_kernelILj54ELj9ELj2EdEEvi20rocsparse_direction_NS_24const_host_device_scalarIT2_EEPKiS6_PKS3_iiS8_S4_PS3_21rocsparse_index_base_b
; %bb.0:
	s_load_dwordx2 s[10:11], s[4:5], 0x48
	s_load_dwordx2 s[8:9], s[4:5], 0x8
	;; [unrolled: 1-line block ×3, first 2 shown]
	s_waitcnt lgkmcnt(0)
	s_bitcmp1_b32 s11, 0
	s_cselect_b64 s[12:13], -1, 0
	v_mov_b32_e32 v3, s8
	s_xor_b64 s[2:3], s[12:13], -1
	s_and_b64 vcc, exec, s[12:13]
	v_mov_b32_e32 v4, s9
	s_cbranch_vccnz .LBB35_2
; %bb.1:
	v_mov_b32_e32 v1, s8
	v_mov_b32_e32 v2, s9
	flat_load_dwordx2 v[3:4], v[1:2]
.LBB35_2:
	v_mov_b32_e32 v2, s1
	s_andn2_b64 vcc, exec, s[2:3]
	v_mov_b32_e32 v1, s0
	s_cbranch_vccnz .LBB35_4
; %bb.3:
	v_mov_b32_e32 v2, s1
	v_mov_b32_e32 v1, s0
	flat_load_dwordx2 v[1:2], v[1:2]
.LBB35_4:
	s_waitcnt vmcnt(0) lgkmcnt(0)
	v_cmp_neq_f64_e32 vcc, 0, v[3:4]
	v_cmp_neq_f64_e64 s[0:1], 1.0, v[1:2]
	s_or_b64 s[0:1], vcc, s[0:1]
	s_and_saveexec_b64 s[2:3], s[0:1]
	s_cbranch_execz .LBB35_33
; %bb.5:
	s_load_dword s2, s[4:5], 0x4
	s_load_dwordx2 s[0:1], s[4:5], 0x10
	v_and_b32_e32 v11, 1, v0
	v_mov_b32_e32 v12, v11
	s_waitcnt lgkmcnt(0)
	s_cmp_lg_u32 s2, 1
	s_cselect_b64 s[12:13], -1, 0
	s_and_b64 vcc, exec, s[12:13]
	s_cbranch_vccnz .LBB35_7
; %bb.6:
	v_mul_u32_u24_e32 v5, 0x1c72, v0
	v_bfe_u32 v12, v5, 16, 1
.LBB35_7:
	s_ashr_i32 s7, s6, 31
	s_lshl_b64 s[2:3], s[6:7], 2
	s_add_u32 s0, s0, s2
	s_addc_u32 s1, s1, s3
	s_load_dwordx2 s[16:17], s[0:1], 0x0
	s_load_dwordx2 s[8:9], s[4:5], 0x40
	v_mov_b32_e32 v5, 0
	v_mov_b32_e32 v6, 0
	s_waitcnt lgkmcnt(0)
	s_cmp_ge_i32 s16, s17
	s_cbranch_scc1 .LBB35_12
; %bb.8:
	s_load_dwordx4 s[0:3], s[4:5], 0x18
	s_load_dwordx2 s[14:15], s[4:5], 0x30
	v_mad_u64_u32 v[5:6], s[4:5], s16, 18, v[0:1]
	s_mul_i32 s4, s10, 18
	s_sub_i32 s7, s17, s10
	v_subrev_u32_e32 v7, s4, v5
	v_mov_b32_e32 v5, 0
	s_sub_i32 s11, s16, s10
	v_mul_u32_u24_e32 v13, 0xe39, v0
	v_mov_b32_e32 v6, 0
	v_mov_b32_e32 v8, 0
	s_branch .LBB35_10
.LBB35_9:                               ;   in Loop: Header=BB35_10 Depth=1
	s_or_b64 exec, exec, s[4:5]
	s_add_i32 s11, s11, 3
	s_cmp_ge_i32 s11, s7
	v_add_u32_e32 v7, 54, v7
	s_cbranch_scc1 .LBB35_12
.LBB35_10:                              ; =>This Inner Loop Header: Depth=1
	v_add_u32_sdwa v9, v13, s11 dst_sel:DWORD dst_unused:UNUSED_PAD src0_sel:WORD_1 src1_sel:DWORD
	v_cmp_gt_i32_e32 vcc, s7, v9
	s_and_saveexec_b64 s[4:5], vcc
	s_cbranch_execz .LBB35_9
; %bb.11:                               ;   in Loop: Header=BB35_10 Depth=1
	v_ashrrev_i32_e32 v10, 31, v9
	v_lshlrev_b64 v[9:10], 2, v[9:10]
	s_waitcnt lgkmcnt(0)
	v_mov_b32_e32 v14, s1
	v_add_co_u32_e32 v9, vcc, s0, v9
	v_addc_co_u32_e32 v10, vcc, v14, v10, vcc
	global_load_dword v14, v[9:10], off
	v_lshlrev_b64 v[9:10], 3, v[7:8]
	v_mov_b32_e32 v15, s3
	v_add_co_u32_e32 v9, vcc, s2, v9
	v_addc_co_u32_e32 v10, vcc, v15, v10, vcc
	v_mov_b32_e32 v16, s15
	global_load_dwordx2 v[9:10], v[9:10], off
	s_waitcnt vmcnt(1)
	v_subrev_u32_e32 v14, s10, v14
	v_lshl_or_b32 v14, v14, 1, v12
	v_ashrrev_i32_e32 v15, 31, v14
	v_lshlrev_b64 v[14:15], 3, v[14:15]
	v_add_co_u32_e32 v14, vcc, s14, v14
	v_addc_co_u32_e32 v15, vcc, v16, v15, vcc
	global_load_dwordx2 v[14:15], v[14:15], off
	s_waitcnt vmcnt(0)
	v_fma_f64 v[5:6], v[9:10], v[14:15], v[5:6]
	s_branch .LBB35_9
.LBB35_12:
	v_lshlrev_b32_e32 v9, 3, v0
	v_cmp_gt_u32_e32 vcc, 18, v0
	ds_write_b64 v9, v[5:6]
	s_waitcnt lgkmcnt(0)
	; wave barrier
	s_and_saveexec_b64 s[0:1], vcc
	s_cbranch_execz .LBB35_14
; %bb.13:
	ds_read2_b64 v[12:15], v9 offset1:36
	s_waitcnt lgkmcnt(0)
	v_add_f64 v[7:8], v[14:15], v[12:13]
	ds_write_b64 v9, v[7:8]
.LBB35_14:
	s_or_b64 exec, exec, s[0:1]
	s_waitcnt lgkmcnt(0)
	; wave barrier
	s_and_saveexec_b64 s[0:1], vcc
	s_cbranch_execz .LBB35_16
; %bb.15:
	ds_read2_b64 v[12:15], v9 offset1:18
	s_waitcnt lgkmcnt(0)
	v_add_f64 v[7:8], v[14:15], v[12:13]
	ds_write_b64 v9, v[7:8]
.LBB35_16:
	s_or_b64 exec, exec, s[0:1]
	s_and_b64 vcc, exec, s[12:13]
	s_waitcnt lgkmcnt(0)
	; wave barrier
	s_cbranch_vccz .LBB35_22
; %bb.17:
	v_cmp_eq_u32_e32 vcc, 0, v11
	s_and_saveexec_b64 s[0:1], vcc
	s_cbranch_execz .LBB35_19
; %bb.18:
	ds_read2_b64 v[10:13], v9 offset1:1
	s_waitcnt lgkmcnt(0)
	v_add_f64 v[7:8], v[12:13], v[10:11]
	ds_write_b64 v9, v[7:8]
.LBB35_19:
	s_or_b64 exec, exec, s[0:1]
	v_mov_b32_e32 v8, v6
	v_cmp_gt_u32_e32 vcc, 9, v0
	v_mov_b32_e32 v7, v5
	s_waitcnt lgkmcnt(0)
	; wave barrier
	s_and_saveexec_b64 s[0:1], vcc
; %bb.20:
	v_lshl_add_u32 v7, v0, 3, v9
	ds_read_b64 v[7:8], v7
; %bb.21:
	s_or_b64 exec, exec, s[0:1]
	s_branch .LBB35_28
.LBB35_22:
                                        ; implicit-def: $vgpr7_vgpr8
	s_cbranch_execz .LBB35_28
; %bb.23:
	v_cmp_lt_u32_e32 vcc, 8, v0
	s_and_saveexec_b64 s[0:1], vcc
	s_xor_b64 s[0:1], exec, s[0:1]
	s_cbranch_execz .LBB35_25
; %bb.24:
	s_waitcnt lgkmcnt(0)
                                        ; implicit-def: $vgpr9
.LBB35_25:
	s_andn2_saveexec_b64 s[0:1], s[0:1]
	s_cbranch_execz .LBB35_27
; %bb.26:
	s_waitcnt lgkmcnt(0)
	ds_read2_b64 v[5:8], v9 offset1:9
	s_waitcnt lgkmcnt(0)
	v_add_f64 v[5:6], v[7:8], v[5:6]
	ds_write_b64 v9, v[5:6]
	s_waitcnt lgkmcnt(0)
	ds_read_b64 v[5:6], v9
.LBB35_27:
	s_or_b64 exec, exec, s[0:1]
	s_waitcnt lgkmcnt(0)
	v_mov_b32_e32 v8, v6
	v_mov_b32_e32 v7, v5
.LBB35_28:
	v_cmp_gt_u32_e32 vcc, 9, v0
	s_and_b64 exec, exec, vcc
	s_cbranch_execz .LBB35_33
; %bb.29:
	v_cmp_eq_f64_e32 vcc, 0, v[1:2]
	s_waitcnt lgkmcnt(0)
	v_mul_f64 v[3:4], v[3:4], v[7:8]
	s_and_saveexec_b64 s[0:1], vcc
	s_xor_b64 s[0:1], exec, s[0:1]
	s_cbranch_execz .LBB35_31
; %bb.30:
	v_mad_u64_u32 v[0:1], s[2:3], s6, 9, v[0:1]
	v_mov_b32_e32 v1, 0
	v_mov_b32_e32 v2, s9
	v_lshlrev_b64 v[0:1], 3, v[0:1]
	v_add_co_u32_e32 v0, vcc, s8, v0
	v_addc_co_u32_e32 v1, vcc, v2, v1, vcc
	global_store_dwordx2 v[0:1], v[3:4], off
                                        ; implicit-def: $vgpr0
                                        ; implicit-def: $vgpr1_vgpr2
                                        ; implicit-def: $vgpr3_vgpr4
.LBB35_31:
	s_andn2_saveexec_b64 s[0:1], s[0:1]
	s_cbranch_execz .LBB35_33
; %bb.32:
	v_mad_u64_u32 v[5:6], s[0:1], s6, 9, v[0:1]
	v_mov_b32_e32 v6, 0
	v_mov_b32_e32 v0, s9
	v_lshlrev_b64 v[5:6], 3, v[5:6]
	v_add_co_u32_e32 v5, vcc, s8, v5
	v_addc_co_u32_e32 v6, vcc, v0, v6, vcc
	global_load_dwordx2 v[7:8], v[5:6], off
	s_waitcnt vmcnt(0)
	v_fma_f64 v[0:1], v[1:2], v[7:8], v[3:4]
	global_store_dwordx2 v[5:6], v[0:1], off
.LBB35_33:
	s_endpgm
	.section	.rodata,"a",@progbits
	.p2align	6, 0x0
	.amdhsa_kernel _ZN9rocsparseL22gebsrmvn_mxn_16_kernelILj54ELj9ELj2EdEEvi20rocsparse_direction_NS_24const_host_device_scalarIT2_EEPKiS6_PKS3_iiS8_S4_PS3_21rocsparse_index_base_b
		.amdhsa_group_segment_fixed_size 432
		.amdhsa_private_segment_fixed_size 0
		.amdhsa_kernarg_size 80
		.amdhsa_user_sgpr_count 6
		.amdhsa_user_sgpr_private_segment_buffer 1
		.amdhsa_user_sgpr_dispatch_ptr 0
		.amdhsa_user_sgpr_queue_ptr 0
		.amdhsa_user_sgpr_kernarg_segment_ptr 1
		.amdhsa_user_sgpr_dispatch_id 0
		.amdhsa_user_sgpr_flat_scratch_init 0
		.amdhsa_user_sgpr_private_segment_size 0
		.amdhsa_uses_dynamic_stack 0
		.amdhsa_system_sgpr_private_segment_wavefront_offset 0
		.amdhsa_system_sgpr_workgroup_id_x 1
		.amdhsa_system_sgpr_workgroup_id_y 0
		.amdhsa_system_sgpr_workgroup_id_z 0
		.amdhsa_system_sgpr_workgroup_info 0
		.amdhsa_system_vgpr_workitem_id 0
		.amdhsa_next_free_vgpr 17
		.amdhsa_next_free_sgpr 18
		.amdhsa_reserve_vcc 1
		.amdhsa_reserve_flat_scratch 0
		.amdhsa_float_round_mode_32 0
		.amdhsa_float_round_mode_16_64 0
		.amdhsa_float_denorm_mode_32 3
		.amdhsa_float_denorm_mode_16_64 3
		.amdhsa_dx10_clamp 1
		.amdhsa_ieee_mode 1
		.amdhsa_fp16_overflow 0
		.amdhsa_exception_fp_ieee_invalid_op 0
		.amdhsa_exception_fp_denorm_src 0
		.amdhsa_exception_fp_ieee_div_zero 0
		.amdhsa_exception_fp_ieee_overflow 0
		.amdhsa_exception_fp_ieee_underflow 0
		.amdhsa_exception_fp_ieee_inexact 0
		.amdhsa_exception_int_div_zero 0
	.end_amdhsa_kernel
	.section	.text._ZN9rocsparseL22gebsrmvn_mxn_16_kernelILj54ELj9ELj2EdEEvi20rocsparse_direction_NS_24const_host_device_scalarIT2_EEPKiS6_PKS3_iiS8_S4_PS3_21rocsparse_index_base_b,"axG",@progbits,_ZN9rocsparseL22gebsrmvn_mxn_16_kernelILj54ELj9ELj2EdEEvi20rocsparse_direction_NS_24const_host_device_scalarIT2_EEPKiS6_PKS3_iiS8_S4_PS3_21rocsparse_index_base_b,comdat
.Lfunc_end35:
	.size	_ZN9rocsparseL22gebsrmvn_mxn_16_kernelILj54ELj9ELj2EdEEvi20rocsparse_direction_NS_24const_host_device_scalarIT2_EEPKiS6_PKS3_iiS8_S4_PS3_21rocsparse_index_base_b, .Lfunc_end35-_ZN9rocsparseL22gebsrmvn_mxn_16_kernelILj54ELj9ELj2EdEEvi20rocsparse_direction_NS_24const_host_device_scalarIT2_EEPKiS6_PKS3_iiS8_S4_PS3_21rocsparse_index_base_b
                                        ; -- End function
	.set _ZN9rocsparseL22gebsrmvn_mxn_16_kernelILj54ELj9ELj2EdEEvi20rocsparse_direction_NS_24const_host_device_scalarIT2_EEPKiS6_PKS3_iiS8_S4_PS3_21rocsparse_index_base_b.num_vgpr, 17
	.set _ZN9rocsparseL22gebsrmvn_mxn_16_kernelILj54ELj9ELj2EdEEvi20rocsparse_direction_NS_24const_host_device_scalarIT2_EEPKiS6_PKS3_iiS8_S4_PS3_21rocsparse_index_base_b.num_agpr, 0
	.set _ZN9rocsparseL22gebsrmvn_mxn_16_kernelILj54ELj9ELj2EdEEvi20rocsparse_direction_NS_24const_host_device_scalarIT2_EEPKiS6_PKS3_iiS8_S4_PS3_21rocsparse_index_base_b.numbered_sgpr, 18
	.set _ZN9rocsparseL22gebsrmvn_mxn_16_kernelILj54ELj9ELj2EdEEvi20rocsparse_direction_NS_24const_host_device_scalarIT2_EEPKiS6_PKS3_iiS8_S4_PS3_21rocsparse_index_base_b.num_named_barrier, 0
	.set _ZN9rocsparseL22gebsrmvn_mxn_16_kernelILj54ELj9ELj2EdEEvi20rocsparse_direction_NS_24const_host_device_scalarIT2_EEPKiS6_PKS3_iiS8_S4_PS3_21rocsparse_index_base_b.private_seg_size, 0
	.set _ZN9rocsparseL22gebsrmvn_mxn_16_kernelILj54ELj9ELj2EdEEvi20rocsparse_direction_NS_24const_host_device_scalarIT2_EEPKiS6_PKS3_iiS8_S4_PS3_21rocsparse_index_base_b.uses_vcc, 1
	.set _ZN9rocsparseL22gebsrmvn_mxn_16_kernelILj54ELj9ELj2EdEEvi20rocsparse_direction_NS_24const_host_device_scalarIT2_EEPKiS6_PKS3_iiS8_S4_PS3_21rocsparse_index_base_b.uses_flat_scratch, 0
	.set _ZN9rocsparseL22gebsrmvn_mxn_16_kernelILj54ELj9ELj2EdEEvi20rocsparse_direction_NS_24const_host_device_scalarIT2_EEPKiS6_PKS3_iiS8_S4_PS3_21rocsparse_index_base_b.has_dyn_sized_stack, 0
	.set _ZN9rocsparseL22gebsrmvn_mxn_16_kernelILj54ELj9ELj2EdEEvi20rocsparse_direction_NS_24const_host_device_scalarIT2_EEPKiS6_PKS3_iiS8_S4_PS3_21rocsparse_index_base_b.has_recursion, 0
	.set _ZN9rocsparseL22gebsrmvn_mxn_16_kernelILj54ELj9ELj2EdEEvi20rocsparse_direction_NS_24const_host_device_scalarIT2_EEPKiS6_PKS3_iiS8_S4_PS3_21rocsparse_index_base_b.has_indirect_call, 0
	.section	.AMDGPU.csdata,"",@progbits
; Kernel info:
; codeLenInByte = 924
; TotalNumSgprs: 22
; NumVgprs: 17
; ScratchSize: 0
; MemoryBound: 0
; FloatMode: 240
; IeeeMode: 1
; LDSByteSize: 432 bytes/workgroup (compile time only)
; SGPRBlocks: 2
; VGPRBlocks: 4
; NumSGPRsForWavesPerEU: 22
; NumVGPRsForWavesPerEU: 17
; Occupancy: 10
; WaveLimiterHint : 1
; COMPUTE_PGM_RSRC2:SCRATCH_EN: 0
; COMPUTE_PGM_RSRC2:USER_SGPR: 6
; COMPUTE_PGM_RSRC2:TRAP_HANDLER: 0
; COMPUTE_PGM_RSRC2:TGID_X_EN: 1
; COMPUTE_PGM_RSRC2:TGID_Y_EN: 0
; COMPUTE_PGM_RSRC2:TGID_Z_EN: 0
; COMPUTE_PGM_RSRC2:TIDIG_COMP_CNT: 0
	.section	.text._ZN9rocsparseL22gebsrmvn_mxn_16_kernelILj54ELj9ELj3EdEEvi20rocsparse_direction_NS_24const_host_device_scalarIT2_EEPKiS6_PKS3_iiS8_S4_PS3_21rocsparse_index_base_b,"axG",@progbits,_ZN9rocsparseL22gebsrmvn_mxn_16_kernelILj54ELj9ELj3EdEEvi20rocsparse_direction_NS_24const_host_device_scalarIT2_EEPKiS6_PKS3_iiS8_S4_PS3_21rocsparse_index_base_b,comdat
	.globl	_ZN9rocsparseL22gebsrmvn_mxn_16_kernelILj54ELj9ELj3EdEEvi20rocsparse_direction_NS_24const_host_device_scalarIT2_EEPKiS6_PKS3_iiS8_S4_PS3_21rocsparse_index_base_b ; -- Begin function _ZN9rocsparseL22gebsrmvn_mxn_16_kernelILj54ELj9ELj3EdEEvi20rocsparse_direction_NS_24const_host_device_scalarIT2_EEPKiS6_PKS3_iiS8_S4_PS3_21rocsparse_index_base_b
	.p2align	8
	.type	_ZN9rocsparseL22gebsrmvn_mxn_16_kernelILj54ELj9ELj3EdEEvi20rocsparse_direction_NS_24const_host_device_scalarIT2_EEPKiS6_PKS3_iiS8_S4_PS3_21rocsparse_index_base_b,@function
_ZN9rocsparseL22gebsrmvn_mxn_16_kernelILj54ELj9ELj3EdEEvi20rocsparse_direction_NS_24const_host_device_scalarIT2_EEPKiS6_PKS3_iiS8_S4_PS3_21rocsparse_index_base_b: ; @_ZN9rocsparseL22gebsrmvn_mxn_16_kernelILj54ELj9ELj3EdEEvi20rocsparse_direction_NS_24const_host_device_scalarIT2_EEPKiS6_PKS3_iiS8_S4_PS3_21rocsparse_index_base_b
; %bb.0:
	s_load_dwordx2 s[10:11], s[4:5], 0x48
	s_load_dwordx2 s[8:9], s[4:5], 0x8
	;; [unrolled: 1-line block ×3, first 2 shown]
	s_waitcnt lgkmcnt(0)
	s_bitcmp1_b32 s11, 0
	s_cselect_b64 s[12:13], -1, 0
	v_mov_b32_e32 v3, s8
	s_xor_b64 s[2:3], s[12:13], -1
	s_and_b64 vcc, exec, s[12:13]
	v_mov_b32_e32 v4, s9
	s_cbranch_vccnz .LBB36_2
; %bb.1:
	v_mov_b32_e32 v1, s8
	v_mov_b32_e32 v2, s9
	flat_load_dwordx2 v[3:4], v[1:2]
.LBB36_2:
	v_mov_b32_e32 v2, s1
	s_andn2_b64 vcc, exec, s[2:3]
	v_mov_b32_e32 v1, s0
	s_cbranch_vccnz .LBB36_4
; %bb.3:
	v_mov_b32_e32 v2, s1
	v_mov_b32_e32 v1, s0
	flat_load_dwordx2 v[1:2], v[1:2]
.LBB36_4:
	s_waitcnt vmcnt(0) lgkmcnt(0)
	v_cmp_neq_f64_e32 vcc, 0, v[3:4]
	v_cmp_neq_f64_e64 s[0:1], 1.0, v[1:2]
	s_or_b64 s[0:1], vcc, s[0:1]
	s_and_saveexec_b64 s[2:3], s[0:1]
	s_cbranch_execz .LBB36_35
; %bb.5:
	s_load_dwordx2 s[0:1], s[4:5], 0x10
	s_load_dword s2, s[4:5], 0x4
	v_mul_u32_u24_e32 v6, 0x5556, v0
	v_mov_b32_e32 v5, 3
	v_mul_lo_u16_sdwa v6, v6, v5 dst_sel:DWORD dst_unused:UNUSED_PAD src0_sel:WORD_1 src1_sel:DWORD
	v_sub_u16_e32 v12, v0, v6
	s_waitcnt lgkmcnt(0)
	s_cmp_lg_u32 s2, 1
	s_cselect_b64 s[12:13], -1, 0
	s_and_b64 vcc, exec, s[12:13]
	v_mov_b32_e32 v7, v12
	s_cbranch_vccnz .LBB36_7
; %bb.6:
	s_movk_i32 s2, 0x1c72
	v_mul_u32_u24_sdwa v6, v0, s2 dst_sel:DWORD dst_unused:UNUSED_PAD src0_sel:WORD_0 src1_sel:DWORD
	s_movk_i32 s2, 0x56
	v_mul_lo_u16_sdwa v7, v6, s2 dst_sel:DWORD dst_unused:UNUSED_PAD src0_sel:WORD_1 src1_sel:DWORD
	v_mul_lo_u16_sdwa v5, v7, v5 dst_sel:DWORD dst_unused:UNUSED_PAD src0_sel:BYTE_1 src1_sel:DWORD
	v_sub_u16_sdwa v5, v6, v5 dst_sel:DWORD dst_unused:UNUSED_PAD src0_sel:WORD_1 src1_sel:DWORD
	v_and_b32_e32 v7, 0xff, v5
.LBB36_7:
	s_ashr_i32 s7, s6, 31
	s_lshl_b64 s[2:3], s[6:7], 2
	s_add_u32 s0, s0, s2
	s_addc_u32 s1, s1, s3
	s_load_dwordx2 s[16:17], s[0:1], 0x0
	s_load_dwordx2 s[8:9], s[4:5], 0x40
	v_mov_b32_e32 v5, 0
	v_mov_b32_e32 v6, 0
	s_waitcnt lgkmcnt(0)
	s_cmp_ge_i32 s16, s17
	s_cbranch_scc1 .LBB36_12
; %bb.8:
	s_load_dwordx4 s[0:3], s[4:5], 0x18
	s_load_dwordx2 s[14:15], s[4:5], 0x30
	v_mad_u64_u32 v[5:6], s[4:5], s16, 27, v[0:1]
	s_movk_i32 s4, 0x97c
	v_mul_u32_u24_sdwa v13, v0, s4 dst_sel:DWORD dst_unused:UNUSED_PAD src0_sel:WORD_0 src1_sel:DWORD
	s_mul_i32 s4, s10, 27
	v_subrev_u32_e32 v8, s4, v5
	v_mov_b32_e32 v5, 0
	s_sub_i32 s7, s17, s10
	s_sub_i32 s11, s16, s10
	v_mov_b32_e32 v6, 0
	v_mov_b32_e32 v9, 0
	s_branch .LBB36_10
.LBB36_9:                               ;   in Loop: Header=BB36_10 Depth=1
	s_or_b64 exec, exec, s[4:5]
	s_add_i32 s11, s11, 2
	s_cmp_ge_i32 s11, s7
	v_add_u32_e32 v8, 54, v8
	s_cbranch_scc1 .LBB36_12
.LBB36_10:                              ; =>This Inner Loop Header: Depth=1
	v_add_u32_sdwa v10, v13, s11 dst_sel:DWORD dst_unused:UNUSED_PAD src0_sel:WORD_1 src1_sel:DWORD
	v_cmp_gt_i32_e32 vcc, s7, v10
	s_and_saveexec_b64 s[4:5], vcc
	s_cbranch_execz .LBB36_9
; %bb.11:                               ;   in Loop: Header=BB36_10 Depth=1
	v_ashrrev_i32_e32 v11, 31, v10
	v_lshlrev_b64 v[10:11], 2, v[10:11]
	s_waitcnt lgkmcnt(0)
	v_mov_b32_e32 v14, s1
	v_add_co_u32_e32 v10, vcc, s0, v10
	v_addc_co_u32_e32 v11, vcc, v14, v11, vcc
	global_load_dword v14, v[10:11], off
	v_lshlrev_b64 v[10:11], 3, v[8:9]
	v_mov_b32_e32 v16, s3
	v_add_co_u32_e32 v10, vcc, s2, v10
	v_addc_co_u32_e32 v11, vcc, v16, v11, vcc
	v_mov_b32_e32 v17, s15
	global_load_dwordx2 v[10:11], v[10:11], off
	s_waitcnt vmcnt(1)
	v_subrev_u32_e32 v14, s10, v14
	v_mad_u64_u32 v[14:15], s[16:17], v14, 3, v[7:8]
	v_ashrrev_i32_e32 v15, 31, v14
	v_lshlrev_b64 v[14:15], 3, v[14:15]
	v_add_co_u32_e32 v14, vcc, s14, v14
	v_addc_co_u32_e32 v15, vcc, v17, v15, vcc
	global_load_dwordx2 v[14:15], v[14:15], off
	s_waitcnt vmcnt(0)
	v_fma_f64 v[5:6], v[10:11], v[14:15], v[5:6]
	s_branch .LBB36_9
.LBB36_12:
	v_lshlrev_b32_e32 v9, 3, v0
	v_cmp_gt_u32_e32 vcc, 27, v0
	ds_write_b64 v9, v[5:6]
	s_waitcnt lgkmcnt(0)
	; wave barrier
	s_and_saveexec_b64 s[0:1], vcc
	s_cbranch_execz .LBB36_14
; %bb.13:
	ds_read2_b64 v[13:16], v9 offset1:27
	s_waitcnt lgkmcnt(0)
	v_add_f64 v[7:8], v[15:16], v[13:14]
	ds_write_b64 v9, v[7:8]
.LBB36_14:
	s_or_b64 exec, exec, s[0:1]
	s_and_b64 vcc, exec, s[12:13]
	s_waitcnt lgkmcnt(0)
	; wave barrier
	s_cbranch_vccz .LBB36_22
; %bb.15:
	v_cmp_eq_u16_e32 vcc, 0, v12
	s_and_saveexec_b64 s[0:1], vcc
	s_cbranch_execz .LBB36_17
; %bb.16:
	ds_read2_b64 v[10:13], v9 offset1:2
	s_waitcnt lgkmcnt(0)
	v_add_f64 v[7:8], v[12:13], v[10:11]
	ds_write_b64 v9, v[7:8]
.LBB36_17:
	s_or_b64 exec, exec, s[0:1]
	s_waitcnt lgkmcnt(0)
	; wave barrier
	s_and_saveexec_b64 s[0:1], vcc
	s_cbranch_execz .LBB36_19
; %bb.18:
	ds_read2_b64 v[10:13], v9 offset1:1
	s_waitcnt lgkmcnt(0)
	v_add_f64 v[7:8], v[12:13], v[10:11]
	ds_write_b64 v9, v[7:8]
.LBB36_19:
	s_or_b64 exec, exec, s[0:1]
	v_mov_b32_e32 v8, v6
	v_cmp_gt_u32_e32 vcc, 9, v0
	v_mov_b32_e32 v7, v5
	s_waitcnt lgkmcnt(0)
	; wave barrier
	s_and_saveexec_b64 s[0:1], vcc
; %bb.20:
	v_lshl_add_u32 v7, v0, 4, v9
	ds_read_b64 v[7:8], v7
; %bb.21:
	s_or_b64 exec, exec, s[0:1]
	v_cmp_gt_u32_e64 s[0:1], 9, v0
	s_branch .LBB36_30
.LBB36_22:
                                        ; implicit-def: $vgpr7_vgpr8
	v_cmp_gt_u32_e64 s[0:1], 9, v0
	s_cbranch_execz .LBB36_30
; %bb.23:
	v_cmp_lt_u32_e32 vcc, 8, v0
	s_and_saveexec_b64 s[2:3], s[0:1]
	s_cbranch_execz .LBB36_25
; %bb.24:
	ds_read2_b64 v[10:13], v9 offset1:18
	s_waitcnt lgkmcnt(0)
	v_add_f64 v[7:8], v[12:13], v[10:11]
	ds_write_b64 v9, v[7:8]
.LBB36_25:
	s_or_b64 exec, exec, s[2:3]
	s_waitcnt lgkmcnt(0)
	; wave barrier
	s_and_saveexec_b64 s[0:1], vcc
	s_xor_b64 s[0:1], exec, s[0:1]
; %bb.26:
                                        ; implicit-def: $vgpr9
; %bb.27:
	s_andn2_saveexec_b64 s[0:1], s[0:1]
	s_cbranch_execz .LBB36_29
; %bb.28:
	ds_read2_b64 v[5:8], v9 offset1:9
	s_waitcnt lgkmcnt(0)
	v_add_f64 v[5:6], v[7:8], v[5:6]
	ds_write_b64 v9, v[5:6]
	s_waitcnt lgkmcnt(0)
	ds_read_b64 v[5:6], v9
.LBB36_29:
	s_or_b64 exec, exec, s[0:1]
	s_waitcnt lgkmcnt(0)
	v_mov_b32_e32 v8, v6
	v_mov_b32_e32 v7, v5
.LBB36_30:
	v_cmp_gt_u32_e32 vcc, 9, v0
	s_and_b64 exec, exec, vcc
	s_cbranch_execz .LBB36_35
; %bb.31:
	v_cmp_eq_f64_e32 vcc, 0, v[1:2]
	s_waitcnt lgkmcnt(0)
	v_mul_f64 v[3:4], v[3:4], v[7:8]
	s_and_saveexec_b64 s[0:1], vcc
	s_xor_b64 s[0:1], exec, s[0:1]
	s_cbranch_execz .LBB36_33
; %bb.32:
	v_mad_u64_u32 v[0:1], s[2:3], s6, 9, v[0:1]
	v_mov_b32_e32 v1, 0
	v_mov_b32_e32 v2, s9
	v_lshlrev_b64 v[0:1], 3, v[0:1]
	v_add_co_u32_e32 v0, vcc, s8, v0
	v_addc_co_u32_e32 v1, vcc, v2, v1, vcc
	global_store_dwordx2 v[0:1], v[3:4], off
                                        ; implicit-def: $vgpr0
                                        ; implicit-def: $vgpr1_vgpr2
                                        ; implicit-def: $vgpr3_vgpr4
.LBB36_33:
	s_andn2_saveexec_b64 s[0:1], s[0:1]
	s_cbranch_execz .LBB36_35
; %bb.34:
	v_mad_u64_u32 v[5:6], s[0:1], s6, 9, v[0:1]
	v_mov_b32_e32 v6, 0
	v_mov_b32_e32 v0, s9
	v_lshlrev_b64 v[5:6], 3, v[5:6]
	v_add_co_u32_e32 v5, vcc, s8, v5
	v_addc_co_u32_e32 v6, vcc, v0, v6, vcc
	global_load_dwordx2 v[7:8], v[5:6], off
	s_waitcnt vmcnt(0)
	v_fma_f64 v[0:1], v[1:2], v[7:8], v[3:4]
	global_store_dwordx2 v[5:6], v[0:1], off
.LBB36_35:
	s_endpgm
	.section	.rodata,"a",@progbits
	.p2align	6, 0x0
	.amdhsa_kernel _ZN9rocsparseL22gebsrmvn_mxn_16_kernelILj54ELj9ELj3EdEEvi20rocsparse_direction_NS_24const_host_device_scalarIT2_EEPKiS6_PKS3_iiS8_S4_PS3_21rocsparse_index_base_b
		.amdhsa_group_segment_fixed_size 432
		.amdhsa_private_segment_fixed_size 0
		.amdhsa_kernarg_size 80
		.amdhsa_user_sgpr_count 6
		.amdhsa_user_sgpr_private_segment_buffer 1
		.amdhsa_user_sgpr_dispatch_ptr 0
		.amdhsa_user_sgpr_queue_ptr 0
		.amdhsa_user_sgpr_kernarg_segment_ptr 1
		.amdhsa_user_sgpr_dispatch_id 0
		.amdhsa_user_sgpr_flat_scratch_init 0
		.amdhsa_user_sgpr_private_segment_size 0
		.amdhsa_uses_dynamic_stack 0
		.amdhsa_system_sgpr_private_segment_wavefront_offset 0
		.amdhsa_system_sgpr_workgroup_id_x 1
		.amdhsa_system_sgpr_workgroup_id_y 0
		.amdhsa_system_sgpr_workgroup_id_z 0
		.amdhsa_system_sgpr_workgroup_info 0
		.amdhsa_system_vgpr_workitem_id 0
		.amdhsa_next_free_vgpr 18
		.amdhsa_next_free_sgpr 18
		.amdhsa_reserve_vcc 1
		.amdhsa_reserve_flat_scratch 0
		.amdhsa_float_round_mode_32 0
		.amdhsa_float_round_mode_16_64 0
		.amdhsa_float_denorm_mode_32 3
		.amdhsa_float_denorm_mode_16_64 3
		.amdhsa_dx10_clamp 1
		.amdhsa_ieee_mode 1
		.amdhsa_fp16_overflow 0
		.amdhsa_exception_fp_ieee_invalid_op 0
		.amdhsa_exception_fp_denorm_src 0
		.amdhsa_exception_fp_ieee_div_zero 0
		.amdhsa_exception_fp_ieee_overflow 0
		.amdhsa_exception_fp_ieee_underflow 0
		.amdhsa_exception_fp_ieee_inexact 0
		.amdhsa_exception_int_div_zero 0
	.end_amdhsa_kernel
	.section	.text._ZN9rocsparseL22gebsrmvn_mxn_16_kernelILj54ELj9ELj3EdEEvi20rocsparse_direction_NS_24const_host_device_scalarIT2_EEPKiS6_PKS3_iiS8_S4_PS3_21rocsparse_index_base_b,"axG",@progbits,_ZN9rocsparseL22gebsrmvn_mxn_16_kernelILj54ELj9ELj3EdEEvi20rocsparse_direction_NS_24const_host_device_scalarIT2_EEPKiS6_PKS3_iiS8_S4_PS3_21rocsparse_index_base_b,comdat
.Lfunc_end36:
	.size	_ZN9rocsparseL22gebsrmvn_mxn_16_kernelILj54ELj9ELj3EdEEvi20rocsparse_direction_NS_24const_host_device_scalarIT2_EEPKiS6_PKS3_iiS8_S4_PS3_21rocsparse_index_base_b, .Lfunc_end36-_ZN9rocsparseL22gebsrmvn_mxn_16_kernelILj54ELj9ELj3EdEEvi20rocsparse_direction_NS_24const_host_device_scalarIT2_EEPKiS6_PKS3_iiS8_S4_PS3_21rocsparse_index_base_b
                                        ; -- End function
	.set _ZN9rocsparseL22gebsrmvn_mxn_16_kernelILj54ELj9ELj3EdEEvi20rocsparse_direction_NS_24const_host_device_scalarIT2_EEPKiS6_PKS3_iiS8_S4_PS3_21rocsparse_index_base_b.num_vgpr, 18
	.set _ZN9rocsparseL22gebsrmvn_mxn_16_kernelILj54ELj9ELj3EdEEvi20rocsparse_direction_NS_24const_host_device_scalarIT2_EEPKiS6_PKS3_iiS8_S4_PS3_21rocsparse_index_base_b.num_agpr, 0
	.set _ZN9rocsparseL22gebsrmvn_mxn_16_kernelILj54ELj9ELj3EdEEvi20rocsparse_direction_NS_24const_host_device_scalarIT2_EEPKiS6_PKS3_iiS8_S4_PS3_21rocsparse_index_base_b.numbered_sgpr, 18
	.set _ZN9rocsparseL22gebsrmvn_mxn_16_kernelILj54ELj9ELj3EdEEvi20rocsparse_direction_NS_24const_host_device_scalarIT2_EEPKiS6_PKS3_iiS8_S4_PS3_21rocsparse_index_base_b.num_named_barrier, 0
	.set _ZN9rocsparseL22gebsrmvn_mxn_16_kernelILj54ELj9ELj3EdEEvi20rocsparse_direction_NS_24const_host_device_scalarIT2_EEPKiS6_PKS3_iiS8_S4_PS3_21rocsparse_index_base_b.private_seg_size, 0
	.set _ZN9rocsparseL22gebsrmvn_mxn_16_kernelILj54ELj9ELj3EdEEvi20rocsparse_direction_NS_24const_host_device_scalarIT2_EEPKiS6_PKS3_iiS8_S4_PS3_21rocsparse_index_base_b.uses_vcc, 1
	.set _ZN9rocsparseL22gebsrmvn_mxn_16_kernelILj54ELj9ELj3EdEEvi20rocsparse_direction_NS_24const_host_device_scalarIT2_EEPKiS6_PKS3_iiS8_S4_PS3_21rocsparse_index_base_b.uses_flat_scratch, 0
	.set _ZN9rocsparseL22gebsrmvn_mxn_16_kernelILj54ELj9ELj3EdEEvi20rocsparse_direction_NS_24const_host_device_scalarIT2_EEPKiS6_PKS3_iiS8_S4_PS3_21rocsparse_index_base_b.has_dyn_sized_stack, 0
	.set _ZN9rocsparseL22gebsrmvn_mxn_16_kernelILj54ELj9ELj3EdEEvi20rocsparse_direction_NS_24const_host_device_scalarIT2_EEPKiS6_PKS3_iiS8_S4_PS3_21rocsparse_index_base_b.has_recursion, 0
	.set _ZN9rocsparseL22gebsrmvn_mxn_16_kernelILj54ELj9ELj3EdEEvi20rocsparse_direction_NS_24const_host_device_scalarIT2_EEPKiS6_PKS3_iiS8_S4_PS3_21rocsparse_index_base_b.has_indirect_call, 0
	.section	.AMDGPU.csdata,"",@progbits
; Kernel info:
; codeLenInByte = 1028
; TotalNumSgprs: 22
; NumVgprs: 18
; ScratchSize: 0
; MemoryBound: 0
; FloatMode: 240
; IeeeMode: 1
; LDSByteSize: 432 bytes/workgroup (compile time only)
; SGPRBlocks: 2
; VGPRBlocks: 4
; NumSGPRsForWavesPerEU: 22
; NumVGPRsForWavesPerEU: 18
; Occupancy: 10
; WaveLimiterHint : 1
; COMPUTE_PGM_RSRC2:SCRATCH_EN: 0
; COMPUTE_PGM_RSRC2:USER_SGPR: 6
; COMPUTE_PGM_RSRC2:TRAP_HANDLER: 0
; COMPUTE_PGM_RSRC2:TGID_X_EN: 1
; COMPUTE_PGM_RSRC2:TGID_Y_EN: 0
; COMPUTE_PGM_RSRC2:TGID_Z_EN: 0
; COMPUTE_PGM_RSRC2:TIDIG_COMP_CNT: 0
	.section	.text._ZN9rocsparseL22gebsrmvn_mxn_16_kernelILj36ELj9ELj4EdEEvi20rocsparse_direction_NS_24const_host_device_scalarIT2_EEPKiS6_PKS3_iiS8_S4_PS3_21rocsparse_index_base_b,"axG",@progbits,_ZN9rocsparseL22gebsrmvn_mxn_16_kernelILj36ELj9ELj4EdEEvi20rocsparse_direction_NS_24const_host_device_scalarIT2_EEPKiS6_PKS3_iiS8_S4_PS3_21rocsparse_index_base_b,comdat
	.globl	_ZN9rocsparseL22gebsrmvn_mxn_16_kernelILj36ELj9ELj4EdEEvi20rocsparse_direction_NS_24const_host_device_scalarIT2_EEPKiS6_PKS3_iiS8_S4_PS3_21rocsparse_index_base_b ; -- Begin function _ZN9rocsparseL22gebsrmvn_mxn_16_kernelILj36ELj9ELj4EdEEvi20rocsparse_direction_NS_24const_host_device_scalarIT2_EEPKiS6_PKS3_iiS8_S4_PS3_21rocsparse_index_base_b
	.p2align	8
	.type	_ZN9rocsparseL22gebsrmvn_mxn_16_kernelILj36ELj9ELj4EdEEvi20rocsparse_direction_NS_24const_host_device_scalarIT2_EEPKiS6_PKS3_iiS8_S4_PS3_21rocsparse_index_base_b,@function
_ZN9rocsparseL22gebsrmvn_mxn_16_kernelILj36ELj9ELj4EdEEvi20rocsparse_direction_NS_24const_host_device_scalarIT2_EEPKiS6_PKS3_iiS8_S4_PS3_21rocsparse_index_base_b: ; @_ZN9rocsparseL22gebsrmvn_mxn_16_kernelILj36ELj9ELj4EdEEvi20rocsparse_direction_NS_24const_host_device_scalarIT2_EEPKiS6_PKS3_iiS8_S4_PS3_21rocsparse_index_base_b
; %bb.0:
	s_load_dwordx2 s[10:11], s[4:5], 0x48
	s_load_dwordx2 s[8:9], s[4:5], 0x8
	;; [unrolled: 1-line block ×3, first 2 shown]
	s_waitcnt lgkmcnt(0)
	s_bitcmp1_b32 s11, 0
	s_cselect_b64 s[12:13], -1, 0
	v_mov_b32_e32 v3, s8
	s_xor_b64 s[2:3], s[12:13], -1
	s_and_b64 vcc, exec, s[12:13]
	v_mov_b32_e32 v4, s9
	s_cbranch_vccnz .LBB37_2
; %bb.1:
	v_mov_b32_e32 v1, s8
	v_mov_b32_e32 v2, s9
	flat_load_dwordx2 v[3:4], v[1:2]
.LBB37_2:
	v_mov_b32_e32 v2, s1
	s_andn2_b64 vcc, exec, s[2:3]
	v_mov_b32_e32 v1, s0
	s_cbranch_vccnz .LBB37_4
; %bb.3:
	v_mov_b32_e32 v2, s1
	v_mov_b32_e32 v1, s0
	flat_load_dwordx2 v[1:2], v[1:2]
.LBB37_4:
	s_waitcnt vmcnt(0) lgkmcnt(0)
	v_cmp_neq_f64_e32 vcc, 0, v[3:4]
	v_cmp_neq_f64_e64 s[0:1], 1.0, v[1:2]
	s_or_b64 s[0:1], vcc, s[0:1]
	s_and_saveexec_b64 s[2:3], s[0:1]
	s_cbranch_execz .LBB37_33
; %bb.5:
	s_load_dword s2, s[4:5], 0x4
	s_load_dwordx2 s[0:1], s[4:5], 0x10
	v_and_b32_e32 v11, 3, v0
	v_mov_b32_e32 v12, v11
	s_waitcnt lgkmcnt(0)
	s_cmp_lg_u32 s2, 1
	s_cselect_b64 s[12:13], -1, 0
	s_and_b64 vcc, exec, s[12:13]
	s_cbranch_vccnz .LBB37_7
; %bb.6:
	v_mul_u32_u24_e32 v5, 0x1c72, v0
	v_bfe_u32 v12, v5, 16, 2
.LBB37_7:
	s_ashr_i32 s7, s6, 31
	s_lshl_b64 s[2:3], s[6:7], 2
	s_add_u32 s0, s0, s2
	s_addc_u32 s1, s1, s3
	s_load_dwordx2 s[16:17], s[0:1], 0x0
	s_load_dwordx2 s[8:9], s[4:5], 0x40
	v_mov_b32_e32 v5, 0
	v_mov_b32_e32 v6, 0
	s_waitcnt lgkmcnt(0)
	s_cmp_ge_i32 s16, s17
	s_cbranch_scc1 .LBB37_12
; %bb.8:
	s_load_dwordx4 s[0:3], s[4:5], 0x18
	s_load_dwordx2 s[14:15], s[4:5], 0x30
	v_mad_u64_u32 v[5:6], s[4:5], s16, 36, v[0:1]
	s_mul_i32 s4, s10, 36
	s_sub_i32 s7, s17, s10
	v_subrev_u32_e32 v7, s4, v5
	v_mov_b32_e32 v5, 0
	s_sub_i32 s11, s16, s10
	v_mul_u32_u24_e32 v13, 0x71d, v0
	v_mov_b32_e32 v6, 0
	v_mov_b32_e32 v8, 0
	s_branch .LBB37_10
.LBB37_9:                               ;   in Loop: Header=BB37_10 Depth=1
	s_or_b64 exec, exec, s[4:5]
	s_add_i32 s11, s11, 1
	s_cmp_ge_i32 s11, s7
	v_add_u32_e32 v7, 36, v7
	s_cbranch_scc1 .LBB37_12
.LBB37_10:                              ; =>This Inner Loop Header: Depth=1
	v_add_u32_sdwa v9, v13, s11 dst_sel:DWORD dst_unused:UNUSED_PAD src0_sel:WORD_1 src1_sel:DWORD
	v_cmp_gt_i32_e32 vcc, s7, v9
	s_and_saveexec_b64 s[4:5], vcc
	s_cbranch_execz .LBB37_9
; %bb.11:                               ;   in Loop: Header=BB37_10 Depth=1
	v_ashrrev_i32_e32 v10, 31, v9
	v_lshlrev_b64 v[9:10], 2, v[9:10]
	s_waitcnt lgkmcnt(0)
	v_mov_b32_e32 v14, s1
	v_add_co_u32_e32 v9, vcc, s0, v9
	v_addc_co_u32_e32 v10, vcc, v14, v10, vcc
	global_load_dword v14, v[9:10], off
	v_lshlrev_b64 v[9:10], 3, v[7:8]
	v_mov_b32_e32 v15, s3
	v_add_co_u32_e32 v9, vcc, s2, v9
	v_addc_co_u32_e32 v10, vcc, v15, v10, vcc
	v_mov_b32_e32 v16, s15
	global_load_dwordx2 v[9:10], v[9:10], off
	s_waitcnt vmcnt(1)
	v_subrev_u32_e32 v14, s10, v14
	v_lshl_or_b32 v14, v14, 2, v12
	v_ashrrev_i32_e32 v15, 31, v14
	v_lshlrev_b64 v[14:15], 3, v[14:15]
	v_add_co_u32_e32 v14, vcc, s14, v14
	v_addc_co_u32_e32 v15, vcc, v16, v15, vcc
	global_load_dwordx2 v[14:15], v[14:15], off
	s_waitcnt vmcnt(0)
	v_fma_f64 v[5:6], v[9:10], v[14:15], v[5:6]
	s_branch .LBB37_9
.LBB37_12:
	v_lshlrev_b32_e32 v9, 3, v0
	s_and_b64 vcc, exec, s[12:13]
	ds_write_b64 v9, v[5:6]
	s_waitcnt lgkmcnt(0)
	; wave barrier
	s_cbranch_vccz .LBB37_20
; %bb.13:
	v_cmp_gt_u32_e32 vcc, 2, v11
	s_and_saveexec_b64 s[0:1], vcc
	s_cbranch_execz .LBB37_15
; %bb.14:
	ds_read2_b64 v[12:15], v9 offset1:2
	s_waitcnt lgkmcnt(0)
	v_add_f64 v[7:8], v[14:15], v[12:13]
	ds_write_b64 v9, v[7:8]
.LBB37_15:
	s_or_b64 exec, exec, s[0:1]
	v_cmp_eq_u32_e32 vcc, 0, v11
	s_waitcnt lgkmcnt(0)
	; wave barrier
	s_and_saveexec_b64 s[0:1], vcc
	s_cbranch_execz .LBB37_17
; %bb.16:
	ds_read2_b64 v[10:13], v9 offset1:1
	s_waitcnt lgkmcnt(0)
	v_add_f64 v[7:8], v[12:13], v[10:11]
	ds_write_b64 v9, v[7:8]
.LBB37_17:
	s_or_b64 exec, exec, s[0:1]
	v_mov_b32_e32 v8, v6
	v_cmp_gt_u32_e32 vcc, 9, v0
	v_mov_b32_e32 v7, v5
	s_waitcnt lgkmcnt(0)
	; wave barrier
	s_and_saveexec_b64 s[0:1], vcc
; %bb.18:
	v_mad_u32_u24 v7, v0, 24, v9
	ds_read_b64 v[7:8], v7
; %bb.19:
	s_or_b64 exec, exec, s[0:1]
	s_branch .LBB37_28
.LBB37_20:
                                        ; implicit-def: $vgpr7_vgpr8
	s_cbranch_execz .LBB37_28
; %bb.21:
	v_cmp_gt_u32_e32 vcc, 18, v0
	s_and_saveexec_b64 s[0:1], vcc
	s_cbranch_execz .LBB37_23
; %bb.22:
	ds_read2_b64 v[10:13], v9 offset1:18
	s_waitcnt lgkmcnt(0)
	v_add_f64 v[7:8], v[12:13], v[10:11]
	ds_write_b64 v9, v[7:8]
.LBB37_23:
	s_or_b64 exec, exec, s[0:1]
	v_cmp_lt_u32_e32 vcc, 8, v0
	s_waitcnt lgkmcnt(0)
	s_and_saveexec_b64 s[0:1], vcc
	s_xor_b64 s[0:1], exec, s[0:1]
; %bb.24:
                                        ; implicit-def: $vgpr9
; %bb.25:
	s_andn2_saveexec_b64 s[0:1], s[0:1]
	s_cbranch_execz .LBB37_27
; %bb.26:
	ds_read2_b64 v[5:8], v9 offset1:9
	s_waitcnt lgkmcnt(0)
	v_add_f64 v[5:6], v[7:8], v[5:6]
	ds_write_b64 v9, v[5:6]
	s_waitcnt lgkmcnt(0)
	ds_read_b64 v[5:6], v9
.LBB37_27:
	s_or_b64 exec, exec, s[0:1]
	s_waitcnt lgkmcnt(0)
	v_mov_b32_e32 v8, v6
	v_mov_b32_e32 v7, v5
.LBB37_28:
	v_cmp_gt_u32_e32 vcc, 9, v0
	s_and_b64 exec, exec, vcc
	s_cbranch_execz .LBB37_33
; %bb.29:
	v_cmp_eq_f64_e32 vcc, 0, v[1:2]
	s_waitcnt lgkmcnt(0)
	v_mul_f64 v[3:4], v[3:4], v[7:8]
	s_and_saveexec_b64 s[0:1], vcc
	s_xor_b64 s[0:1], exec, s[0:1]
	s_cbranch_execz .LBB37_31
; %bb.30:
	v_mad_u64_u32 v[0:1], s[2:3], s6, 9, v[0:1]
	v_mov_b32_e32 v1, 0
	v_mov_b32_e32 v2, s9
	v_lshlrev_b64 v[0:1], 3, v[0:1]
	v_add_co_u32_e32 v0, vcc, s8, v0
	v_addc_co_u32_e32 v1, vcc, v2, v1, vcc
	global_store_dwordx2 v[0:1], v[3:4], off
                                        ; implicit-def: $vgpr0
                                        ; implicit-def: $vgpr1_vgpr2
                                        ; implicit-def: $vgpr3_vgpr4
.LBB37_31:
	s_andn2_saveexec_b64 s[0:1], s[0:1]
	s_cbranch_execz .LBB37_33
; %bb.32:
	v_mad_u64_u32 v[5:6], s[0:1], s6, 9, v[0:1]
	v_mov_b32_e32 v6, 0
	v_mov_b32_e32 v0, s9
	v_lshlrev_b64 v[5:6], 3, v[5:6]
	v_add_co_u32_e32 v5, vcc, s8, v5
	v_addc_co_u32_e32 v6, vcc, v0, v6, vcc
	global_load_dwordx2 v[7:8], v[5:6], off
	s_waitcnt vmcnt(0)
	v_fma_f64 v[0:1], v[1:2], v[7:8], v[3:4]
	global_store_dwordx2 v[5:6], v[0:1], off
.LBB37_33:
	s_endpgm
	.section	.rodata,"a",@progbits
	.p2align	6, 0x0
	.amdhsa_kernel _ZN9rocsparseL22gebsrmvn_mxn_16_kernelILj36ELj9ELj4EdEEvi20rocsparse_direction_NS_24const_host_device_scalarIT2_EEPKiS6_PKS3_iiS8_S4_PS3_21rocsparse_index_base_b
		.amdhsa_group_segment_fixed_size 288
		.amdhsa_private_segment_fixed_size 0
		.amdhsa_kernarg_size 80
		.amdhsa_user_sgpr_count 6
		.amdhsa_user_sgpr_private_segment_buffer 1
		.amdhsa_user_sgpr_dispatch_ptr 0
		.amdhsa_user_sgpr_queue_ptr 0
		.amdhsa_user_sgpr_kernarg_segment_ptr 1
		.amdhsa_user_sgpr_dispatch_id 0
		.amdhsa_user_sgpr_flat_scratch_init 0
		.amdhsa_user_sgpr_private_segment_size 0
		.amdhsa_uses_dynamic_stack 0
		.amdhsa_system_sgpr_private_segment_wavefront_offset 0
		.amdhsa_system_sgpr_workgroup_id_x 1
		.amdhsa_system_sgpr_workgroup_id_y 0
		.amdhsa_system_sgpr_workgroup_id_z 0
		.amdhsa_system_sgpr_workgroup_info 0
		.amdhsa_system_vgpr_workitem_id 0
		.amdhsa_next_free_vgpr 17
		.amdhsa_next_free_sgpr 18
		.amdhsa_reserve_vcc 1
		.amdhsa_reserve_flat_scratch 0
		.amdhsa_float_round_mode_32 0
		.amdhsa_float_round_mode_16_64 0
		.amdhsa_float_denorm_mode_32 3
		.amdhsa_float_denorm_mode_16_64 3
		.amdhsa_dx10_clamp 1
		.amdhsa_ieee_mode 1
		.amdhsa_fp16_overflow 0
		.amdhsa_exception_fp_ieee_invalid_op 0
		.amdhsa_exception_fp_denorm_src 0
		.amdhsa_exception_fp_ieee_div_zero 0
		.amdhsa_exception_fp_ieee_overflow 0
		.amdhsa_exception_fp_ieee_underflow 0
		.amdhsa_exception_fp_ieee_inexact 0
		.amdhsa_exception_int_div_zero 0
	.end_amdhsa_kernel
	.section	.text._ZN9rocsparseL22gebsrmvn_mxn_16_kernelILj36ELj9ELj4EdEEvi20rocsparse_direction_NS_24const_host_device_scalarIT2_EEPKiS6_PKS3_iiS8_S4_PS3_21rocsparse_index_base_b,"axG",@progbits,_ZN9rocsparseL22gebsrmvn_mxn_16_kernelILj36ELj9ELj4EdEEvi20rocsparse_direction_NS_24const_host_device_scalarIT2_EEPKiS6_PKS3_iiS8_S4_PS3_21rocsparse_index_base_b,comdat
.Lfunc_end37:
	.size	_ZN9rocsparseL22gebsrmvn_mxn_16_kernelILj36ELj9ELj4EdEEvi20rocsparse_direction_NS_24const_host_device_scalarIT2_EEPKiS6_PKS3_iiS8_S4_PS3_21rocsparse_index_base_b, .Lfunc_end37-_ZN9rocsparseL22gebsrmvn_mxn_16_kernelILj36ELj9ELj4EdEEvi20rocsparse_direction_NS_24const_host_device_scalarIT2_EEPKiS6_PKS3_iiS8_S4_PS3_21rocsparse_index_base_b
                                        ; -- End function
	.set _ZN9rocsparseL22gebsrmvn_mxn_16_kernelILj36ELj9ELj4EdEEvi20rocsparse_direction_NS_24const_host_device_scalarIT2_EEPKiS6_PKS3_iiS8_S4_PS3_21rocsparse_index_base_b.num_vgpr, 17
	.set _ZN9rocsparseL22gebsrmvn_mxn_16_kernelILj36ELj9ELj4EdEEvi20rocsparse_direction_NS_24const_host_device_scalarIT2_EEPKiS6_PKS3_iiS8_S4_PS3_21rocsparse_index_base_b.num_agpr, 0
	.set _ZN9rocsparseL22gebsrmvn_mxn_16_kernelILj36ELj9ELj4EdEEvi20rocsparse_direction_NS_24const_host_device_scalarIT2_EEPKiS6_PKS3_iiS8_S4_PS3_21rocsparse_index_base_b.numbered_sgpr, 18
	.set _ZN9rocsparseL22gebsrmvn_mxn_16_kernelILj36ELj9ELj4EdEEvi20rocsparse_direction_NS_24const_host_device_scalarIT2_EEPKiS6_PKS3_iiS8_S4_PS3_21rocsparse_index_base_b.num_named_barrier, 0
	.set _ZN9rocsparseL22gebsrmvn_mxn_16_kernelILj36ELj9ELj4EdEEvi20rocsparse_direction_NS_24const_host_device_scalarIT2_EEPKiS6_PKS3_iiS8_S4_PS3_21rocsparse_index_base_b.private_seg_size, 0
	.set _ZN9rocsparseL22gebsrmvn_mxn_16_kernelILj36ELj9ELj4EdEEvi20rocsparse_direction_NS_24const_host_device_scalarIT2_EEPKiS6_PKS3_iiS8_S4_PS3_21rocsparse_index_base_b.uses_vcc, 1
	.set _ZN9rocsparseL22gebsrmvn_mxn_16_kernelILj36ELj9ELj4EdEEvi20rocsparse_direction_NS_24const_host_device_scalarIT2_EEPKiS6_PKS3_iiS8_S4_PS3_21rocsparse_index_base_b.uses_flat_scratch, 0
	.set _ZN9rocsparseL22gebsrmvn_mxn_16_kernelILj36ELj9ELj4EdEEvi20rocsparse_direction_NS_24const_host_device_scalarIT2_EEPKiS6_PKS3_iiS8_S4_PS3_21rocsparse_index_base_b.has_dyn_sized_stack, 0
	.set _ZN9rocsparseL22gebsrmvn_mxn_16_kernelILj36ELj9ELj4EdEEvi20rocsparse_direction_NS_24const_host_device_scalarIT2_EEPKiS6_PKS3_iiS8_S4_PS3_21rocsparse_index_base_b.has_recursion, 0
	.set _ZN9rocsparseL22gebsrmvn_mxn_16_kernelILj36ELj9ELj4EdEEvi20rocsparse_direction_NS_24const_host_device_scalarIT2_EEPKiS6_PKS3_iiS8_S4_PS3_21rocsparse_index_base_b.has_indirect_call, 0
	.section	.AMDGPU.csdata,"",@progbits
; Kernel info:
; codeLenInByte = 916
; TotalNumSgprs: 22
; NumVgprs: 17
; ScratchSize: 0
; MemoryBound: 0
; FloatMode: 240
; IeeeMode: 1
; LDSByteSize: 288 bytes/workgroup (compile time only)
; SGPRBlocks: 2
; VGPRBlocks: 4
; NumSGPRsForWavesPerEU: 22
; NumVGPRsForWavesPerEU: 17
; Occupancy: 10
; WaveLimiterHint : 1
; COMPUTE_PGM_RSRC2:SCRATCH_EN: 0
; COMPUTE_PGM_RSRC2:USER_SGPR: 6
; COMPUTE_PGM_RSRC2:TRAP_HANDLER: 0
; COMPUTE_PGM_RSRC2:TGID_X_EN: 1
; COMPUTE_PGM_RSRC2:TGID_Y_EN: 0
; COMPUTE_PGM_RSRC2:TGID_Z_EN: 0
; COMPUTE_PGM_RSRC2:TIDIG_COMP_CNT: 0
	.section	.text._ZN9rocsparseL22gebsrmvn_mxn_16_kernelILj45ELj9ELj5EdEEvi20rocsparse_direction_NS_24const_host_device_scalarIT2_EEPKiS6_PKS3_iiS8_S4_PS3_21rocsparse_index_base_b,"axG",@progbits,_ZN9rocsparseL22gebsrmvn_mxn_16_kernelILj45ELj9ELj5EdEEvi20rocsparse_direction_NS_24const_host_device_scalarIT2_EEPKiS6_PKS3_iiS8_S4_PS3_21rocsparse_index_base_b,comdat
	.globl	_ZN9rocsparseL22gebsrmvn_mxn_16_kernelILj45ELj9ELj5EdEEvi20rocsparse_direction_NS_24const_host_device_scalarIT2_EEPKiS6_PKS3_iiS8_S4_PS3_21rocsparse_index_base_b ; -- Begin function _ZN9rocsparseL22gebsrmvn_mxn_16_kernelILj45ELj9ELj5EdEEvi20rocsparse_direction_NS_24const_host_device_scalarIT2_EEPKiS6_PKS3_iiS8_S4_PS3_21rocsparse_index_base_b
	.p2align	8
	.type	_ZN9rocsparseL22gebsrmvn_mxn_16_kernelILj45ELj9ELj5EdEEvi20rocsparse_direction_NS_24const_host_device_scalarIT2_EEPKiS6_PKS3_iiS8_S4_PS3_21rocsparse_index_base_b,@function
_ZN9rocsparseL22gebsrmvn_mxn_16_kernelILj45ELj9ELj5EdEEvi20rocsparse_direction_NS_24const_host_device_scalarIT2_EEPKiS6_PKS3_iiS8_S4_PS3_21rocsparse_index_base_b: ; @_ZN9rocsparseL22gebsrmvn_mxn_16_kernelILj45ELj9ELj5EdEEvi20rocsparse_direction_NS_24const_host_device_scalarIT2_EEPKiS6_PKS3_iiS8_S4_PS3_21rocsparse_index_base_b
; %bb.0:
	s_load_dwordx2 s[10:11], s[4:5], 0x48
	s_load_dwordx2 s[8:9], s[4:5], 0x8
	;; [unrolled: 1-line block ×3, first 2 shown]
	s_waitcnt lgkmcnt(0)
	s_bitcmp1_b32 s11, 0
	s_cselect_b64 s[12:13], -1, 0
	v_mov_b32_e32 v3, s8
	s_xor_b64 s[2:3], s[12:13], -1
	s_and_b64 vcc, exec, s[12:13]
	v_mov_b32_e32 v4, s9
	s_cbranch_vccnz .LBB38_2
; %bb.1:
	v_mov_b32_e32 v1, s8
	v_mov_b32_e32 v2, s9
	flat_load_dwordx2 v[3:4], v[1:2]
.LBB38_2:
	v_mov_b32_e32 v2, s1
	s_andn2_b64 vcc, exec, s[2:3]
	v_mov_b32_e32 v1, s0
	s_cbranch_vccnz .LBB38_4
; %bb.3:
	v_mov_b32_e32 v2, s1
	v_mov_b32_e32 v1, s0
	flat_load_dwordx2 v[1:2], v[1:2]
.LBB38_4:
	s_waitcnt vmcnt(0) lgkmcnt(0)
	v_cmp_neq_f64_e32 vcc, 0, v[3:4]
	v_cmp_neq_f64_e64 s[0:1], 1.0, v[1:2]
	s_or_b64 s[0:1], vcc, s[0:1]
	s_and_saveexec_b64 s[2:3], s[0:1]
	s_cbranch_execz .LBB38_37
; %bb.5:
	s_load_dwordx2 s[0:1], s[4:5], 0x10
	s_load_dword s2, s[4:5], 0x4
	v_mul_u32_u24_e32 v6, 0x3334, v0
	v_mov_b32_e32 v5, 5
	v_mul_lo_u16_sdwa v6, v6, v5 dst_sel:DWORD dst_unused:UNUSED_PAD src0_sel:WORD_1 src1_sel:DWORD
	v_sub_u16_e32 v12, v0, v6
	s_waitcnt lgkmcnt(0)
	s_cmp_lg_u32 s2, 1
	s_cselect_b64 s[12:13], -1, 0
	s_and_b64 vcc, exec, s[12:13]
	v_mov_b32_e32 v7, v12
	s_cbranch_vccnz .LBB38_7
; %bb.6:
	s_movk_i32 s2, 0x1c72
	v_mul_u32_u24_sdwa v6, v0, s2 dst_sel:DWORD dst_unused:UNUSED_PAD src0_sel:WORD_0 src1_sel:DWORD
	v_mov_b32_e32 v7, 52
	v_mul_lo_u16_sdwa v7, v6, v7 dst_sel:DWORD dst_unused:UNUSED_PAD src0_sel:WORD_1 src1_sel:DWORD
	v_mul_lo_u16_sdwa v5, v7, v5 dst_sel:DWORD dst_unused:UNUSED_PAD src0_sel:BYTE_1 src1_sel:DWORD
	v_sub_u16_sdwa v5, v6, v5 dst_sel:DWORD dst_unused:UNUSED_PAD src0_sel:WORD_1 src1_sel:DWORD
	v_and_b32_e32 v7, 0xff, v5
.LBB38_7:
	s_ashr_i32 s7, s6, 31
	s_lshl_b64 s[2:3], s[6:7], 2
	s_add_u32 s0, s0, s2
	s_addc_u32 s1, s1, s3
	s_load_dwordx2 s[16:17], s[0:1], 0x0
	s_load_dwordx2 s[8:9], s[4:5], 0x40
	v_mov_b32_e32 v5, 0
	v_mov_b32_e32 v6, 0
	s_waitcnt lgkmcnt(0)
	s_cmp_ge_i32 s16, s17
	s_cbranch_scc1 .LBB38_12
; %bb.8:
	s_load_dwordx4 s[0:3], s[4:5], 0x18
	s_load_dwordx2 s[14:15], s[4:5], 0x30
	v_mad_u64_u32 v[5:6], s[4:5], s16, 45, v[0:1]
	s_movk_i32 s4, 0x5b1
	v_mul_u32_u24_sdwa v13, v0, s4 dst_sel:DWORD dst_unused:UNUSED_PAD src0_sel:WORD_0 src1_sel:DWORD
	s_mul_i32 s4, s10, 45
	v_subrev_u32_e32 v8, s4, v5
	v_mov_b32_e32 v5, 0
	s_sub_i32 s7, s17, s10
	s_sub_i32 s11, s16, s10
	v_mov_b32_e32 v6, 0
	v_mov_b32_e32 v9, 0
	s_branch .LBB38_10
.LBB38_9:                               ;   in Loop: Header=BB38_10 Depth=1
	s_or_b64 exec, exec, s[4:5]
	s_add_i32 s11, s11, 1
	s_cmp_ge_i32 s11, s7
	v_add_u32_e32 v8, 45, v8
	s_cbranch_scc1 .LBB38_12
.LBB38_10:                              ; =>This Inner Loop Header: Depth=1
	v_add_u32_sdwa v10, v13, s11 dst_sel:DWORD dst_unused:UNUSED_PAD src0_sel:WORD_1 src1_sel:DWORD
	v_cmp_gt_i32_e32 vcc, s7, v10
	s_and_saveexec_b64 s[4:5], vcc
	s_cbranch_execz .LBB38_9
; %bb.11:                               ;   in Loop: Header=BB38_10 Depth=1
	v_ashrrev_i32_e32 v11, 31, v10
	v_lshlrev_b64 v[10:11], 2, v[10:11]
	s_waitcnt lgkmcnt(0)
	v_mov_b32_e32 v14, s1
	v_add_co_u32_e32 v10, vcc, s0, v10
	v_addc_co_u32_e32 v11, vcc, v14, v11, vcc
	global_load_dword v14, v[10:11], off
	v_lshlrev_b64 v[10:11], 3, v[8:9]
	v_mov_b32_e32 v16, s3
	v_add_co_u32_e32 v10, vcc, s2, v10
	v_addc_co_u32_e32 v11, vcc, v16, v11, vcc
	v_mov_b32_e32 v17, s15
	global_load_dwordx2 v[10:11], v[10:11], off
	s_waitcnt vmcnt(1)
	v_subrev_u32_e32 v14, s10, v14
	v_mad_u64_u32 v[14:15], s[16:17], v14, 5, v[7:8]
	v_ashrrev_i32_e32 v15, 31, v14
	v_lshlrev_b64 v[14:15], 3, v[14:15]
	v_add_co_u32_e32 v14, vcc, s14, v14
	v_addc_co_u32_e32 v15, vcc, v17, v15, vcc
	global_load_dwordx2 v[14:15], v[14:15], off
	s_waitcnt vmcnt(0)
	v_fma_f64 v[5:6], v[10:11], v[14:15], v[5:6]
	s_branch .LBB38_9
.LBB38_12:
	v_lshlrev_b32_e32 v9, 3, v0
	s_and_b64 vcc, exec, s[12:13]
	ds_write_b64 v9, v[5:6]
	s_waitcnt lgkmcnt(0)
	; wave barrier
	s_cbranch_vccz .LBB38_22
; %bb.13:
	v_cmp_eq_u16_e32 vcc, 0, v12
	s_and_saveexec_b64 s[0:1], vcc
	s_cbranch_execz .LBB38_15
; %bb.14:
	ds_read2_b64 v[13:16], v9 offset1:4
	s_waitcnt lgkmcnt(0)
	v_add_f64 v[7:8], v[15:16], v[13:14]
	ds_write_b64 v9, v[7:8]
.LBB38_15:
	s_or_b64 exec, exec, s[0:1]
	v_cmp_gt_u16_e64 s[0:1], 2, v12
	s_waitcnt lgkmcnt(0)
	; wave barrier
	s_and_saveexec_b64 s[2:3], s[0:1]
	s_cbranch_execz .LBB38_17
; %bb.16:
	ds_read2_b64 v[10:13], v9 offset1:2
	s_waitcnt lgkmcnt(0)
	v_add_f64 v[7:8], v[12:13], v[10:11]
	ds_write_b64 v9, v[7:8]
.LBB38_17:
	s_or_b64 exec, exec, s[2:3]
	s_waitcnt lgkmcnt(0)
	; wave barrier
	s_and_saveexec_b64 s[0:1], vcc
	s_cbranch_execz .LBB38_19
; %bb.18:
	ds_read2_b64 v[10:13], v9 offset1:1
	s_waitcnt lgkmcnt(0)
	v_add_f64 v[7:8], v[12:13], v[10:11]
	ds_write_b64 v9, v[7:8]
.LBB38_19:
	s_or_b64 exec, exec, s[0:1]
	v_mov_b32_e32 v8, v6
	v_cmp_gt_u32_e32 vcc, 9, v0
	v_mov_b32_e32 v7, v5
	s_waitcnt lgkmcnt(0)
	; wave barrier
	s_and_saveexec_b64 s[0:1], vcc
; %bb.20:
	v_lshl_add_u32 v7, v0, 5, v9
	ds_read_b64 v[7:8], v7
; %bb.21:
	s_or_b64 exec, exec, s[0:1]
	v_cmp_gt_u32_e64 s[0:1], 9, v0
	s_branch .LBB38_32
.LBB38_22:
                                        ; implicit-def: $vgpr7_vgpr8
	v_cmp_gt_u32_e64 s[0:1], 9, v0
	s_cbranch_execz .LBB38_32
; %bb.23:
	v_cmp_lt_u32_e32 vcc, 8, v0
	s_and_saveexec_b64 s[2:3], s[0:1]
	s_cbranch_execz .LBB38_25
; %bb.24:
	ds_read2_b64 v[10:13], v9 offset1:36
	s_waitcnt lgkmcnt(0)
	v_add_f64 v[7:8], v[12:13], v[10:11]
	ds_write_b64 v9, v[7:8]
.LBB38_25:
	s_or_b64 exec, exec, s[2:3]
	v_cmp_gt_u32_e64 s[0:1], 18, v0
	s_waitcnt lgkmcnt(0)
	; wave barrier
	s_and_saveexec_b64 s[2:3], s[0:1]
	s_cbranch_execz .LBB38_27
; %bb.26:
	ds_read2_b64 v[10:13], v9 offset1:18
	s_waitcnt lgkmcnt(0)
	v_add_f64 v[7:8], v[12:13], v[10:11]
	ds_write_b64 v9, v[7:8]
.LBB38_27:
	s_or_b64 exec, exec, s[2:3]
	s_waitcnt lgkmcnt(0)
	s_and_saveexec_b64 s[0:1], vcc
	s_xor_b64 s[0:1], exec, s[0:1]
; %bb.28:
                                        ; implicit-def: $vgpr9
; %bb.29:
	s_andn2_saveexec_b64 s[0:1], s[0:1]
	s_cbranch_execz .LBB38_31
; %bb.30:
	ds_read2_b64 v[5:8], v9 offset1:9
	s_waitcnt lgkmcnt(0)
	v_add_f64 v[5:6], v[7:8], v[5:6]
	ds_write_b64 v9, v[5:6]
	s_waitcnt lgkmcnt(0)
	ds_read_b64 v[5:6], v9
.LBB38_31:
	s_or_b64 exec, exec, s[0:1]
	s_waitcnt lgkmcnt(0)
	v_mov_b32_e32 v8, v6
	v_mov_b32_e32 v7, v5
.LBB38_32:
	v_cmp_gt_u32_e32 vcc, 9, v0
	s_and_b64 exec, exec, vcc
	s_cbranch_execz .LBB38_37
; %bb.33:
	v_cmp_eq_f64_e32 vcc, 0, v[1:2]
	s_waitcnt lgkmcnt(0)
	v_mul_f64 v[3:4], v[3:4], v[7:8]
	s_and_saveexec_b64 s[0:1], vcc
	s_xor_b64 s[0:1], exec, s[0:1]
	s_cbranch_execz .LBB38_35
; %bb.34:
	v_mad_u64_u32 v[0:1], s[2:3], s6, 9, v[0:1]
	v_mov_b32_e32 v1, 0
	v_mov_b32_e32 v2, s9
	v_lshlrev_b64 v[0:1], 3, v[0:1]
	v_add_co_u32_e32 v0, vcc, s8, v0
	v_addc_co_u32_e32 v1, vcc, v2, v1, vcc
	global_store_dwordx2 v[0:1], v[3:4], off
                                        ; implicit-def: $vgpr0
                                        ; implicit-def: $vgpr1_vgpr2
                                        ; implicit-def: $vgpr3_vgpr4
.LBB38_35:
	s_andn2_saveexec_b64 s[0:1], s[0:1]
	s_cbranch_execz .LBB38_37
; %bb.36:
	v_mad_u64_u32 v[5:6], s[0:1], s6, 9, v[0:1]
	v_mov_b32_e32 v6, 0
	v_mov_b32_e32 v0, s9
	v_lshlrev_b64 v[5:6], 3, v[5:6]
	v_add_co_u32_e32 v5, vcc, s8, v5
	v_addc_co_u32_e32 v6, vcc, v0, v6, vcc
	global_load_dwordx2 v[7:8], v[5:6], off
	s_waitcnt vmcnt(0)
	v_fma_f64 v[0:1], v[1:2], v[7:8], v[3:4]
	global_store_dwordx2 v[5:6], v[0:1], off
.LBB38_37:
	s_endpgm
	.section	.rodata,"a",@progbits
	.p2align	6, 0x0
	.amdhsa_kernel _ZN9rocsparseL22gebsrmvn_mxn_16_kernelILj45ELj9ELj5EdEEvi20rocsparse_direction_NS_24const_host_device_scalarIT2_EEPKiS6_PKS3_iiS8_S4_PS3_21rocsparse_index_base_b
		.amdhsa_group_segment_fixed_size 360
		.amdhsa_private_segment_fixed_size 0
		.amdhsa_kernarg_size 80
		.amdhsa_user_sgpr_count 6
		.amdhsa_user_sgpr_private_segment_buffer 1
		.amdhsa_user_sgpr_dispatch_ptr 0
		.amdhsa_user_sgpr_queue_ptr 0
		.amdhsa_user_sgpr_kernarg_segment_ptr 1
		.amdhsa_user_sgpr_dispatch_id 0
		.amdhsa_user_sgpr_flat_scratch_init 0
		.amdhsa_user_sgpr_private_segment_size 0
		.amdhsa_uses_dynamic_stack 0
		.amdhsa_system_sgpr_private_segment_wavefront_offset 0
		.amdhsa_system_sgpr_workgroup_id_x 1
		.amdhsa_system_sgpr_workgroup_id_y 0
		.amdhsa_system_sgpr_workgroup_id_z 0
		.amdhsa_system_sgpr_workgroup_info 0
		.amdhsa_system_vgpr_workitem_id 0
		.amdhsa_next_free_vgpr 18
		.amdhsa_next_free_sgpr 18
		.amdhsa_reserve_vcc 1
		.amdhsa_reserve_flat_scratch 0
		.amdhsa_float_round_mode_32 0
		.amdhsa_float_round_mode_16_64 0
		.amdhsa_float_denorm_mode_32 3
		.amdhsa_float_denorm_mode_16_64 3
		.amdhsa_dx10_clamp 1
		.amdhsa_ieee_mode 1
		.amdhsa_fp16_overflow 0
		.amdhsa_exception_fp_ieee_invalid_op 0
		.amdhsa_exception_fp_denorm_src 0
		.amdhsa_exception_fp_ieee_div_zero 0
		.amdhsa_exception_fp_ieee_overflow 0
		.amdhsa_exception_fp_ieee_underflow 0
		.amdhsa_exception_fp_ieee_inexact 0
		.amdhsa_exception_int_div_zero 0
	.end_amdhsa_kernel
	.section	.text._ZN9rocsparseL22gebsrmvn_mxn_16_kernelILj45ELj9ELj5EdEEvi20rocsparse_direction_NS_24const_host_device_scalarIT2_EEPKiS6_PKS3_iiS8_S4_PS3_21rocsparse_index_base_b,"axG",@progbits,_ZN9rocsparseL22gebsrmvn_mxn_16_kernelILj45ELj9ELj5EdEEvi20rocsparse_direction_NS_24const_host_device_scalarIT2_EEPKiS6_PKS3_iiS8_S4_PS3_21rocsparse_index_base_b,comdat
.Lfunc_end38:
	.size	_ZN9rocsparseL22gebsrmvn_mxn_16_kernelILj45ELj9ELj5EdEEvi20rocsparse_direction_NS_24const_host_device_scalarIT2_EEPKiS6_PKS3_iiS8_S4_PS3_21rocsparse_index_base_b, .Lfunc_end38-_ZN9rocsparseL22gebsrmvn_mxn_16_kernelILj45ELj9ELj5EdEEvi20rocsparse_direction_NS_24const_host_device_scalarIT2_EEPKiS6_PKS3_iiS8_S4_PS3_21rocsparse_index_base_b
                                        ; -- End function
	.set _ZN9rocsparseL22gebsrmvn_mxn_16_kernelILj45ELj9ELj5EdEEvi20rocsparse_direction_NS_24const_host_device_scalarIT2_EEPKiS6_PKS3_iiS8_S4_PS3_21rocsparse_index_base_b.num_vgpr, 18
	.set _ZN9rocsparseL22gebsrmvn_mxn_16_kernelILj45ELj9ELj5EdEEvi20rocsparse_direction_NS_24const_host_device_scalarIT2_EEPKiS6_PKS3_iiS8_S4_PS3_21rocsparse_index_base_b.num_agpr, 0
	.set _ZN9rocsparseL22gebsrmvn_mxn_16_kernelILj45ELj9ELj5EdEEvi20rocsparse_direction_NS_24const_host_device_scalarIT2_EEPKiS6_PKS3_iiS8_S4_PS3_21rocsparse_index_base_b.numbered_sgpr, 18
	.set _ZN9rocsparseL22gebsrmvn_mxn_16_kernelILj45ELj9ELj5EdEEvi20rocsparse_direction_NS_24const_host_device_scalarIT2_EEPKiS6_PKS3_iiS8_S4_PS3_21rocsparse_index_base_b.num_named_barrier, 0
	.set _ZN9rocsparseL22gebsrmvn_mxn_16_kernelILj45ELj9ELj5EdEEvi20rocsparse_direction_NS_24const_host_device_scalarIT2_EEPKiS6_PKS3_iiS8_S4_PS3_21rocsparse_index_base_b.private_seg_size, 0
	.set _ZN9rocsparseL22gebsrmvn_mxn_16_kernelILj45ELj9ELj5EdEEvi20rocsparse_direction_NS_24const_host_device_scalarIT2_EEPKiS6_PKS3_iiS8_S4_PS3_21rocsparse_index_base_b.uses_vcc, 1
	.set _ZN9rocsparseL22gebsrmvn_mxn_16_kernelILj45ELj9ELj5EdEEvi20rocsparse_direction_NS_24const_host_device_scalarIT2_EEPKiS6_PKS3_iiS8_S4_PS3_21rocsparse_index_base_b.uses_flat_scratch, 0
	.set _ZN9rocsparseL22gebsrmvn_mxn_16_kernelILj45ELj9ELj5EdEEvi20rocsparse_direction_NS_24const_host_device_scalarIT2_EEPKiS6_PKS3_iiS8_S4_PS3_21rocsparse_index_base_b.has_dyn_sized_stack, 0
	.set _ZN9rocsparseL22gebsrmvn_mxn_16_kernelILj45ELj9ELj5EdEEvi20rocsparse_direction_NS_24const_host_device_scalarIT2_EEPKiS6_PKS3_iiS8_S4_PS3_21rocsparse_index_base_b.has_recursion, 0
	.set _ZN9rocsparseL22gebsrmvn_mxn_16_kernelILj45ELj9ELj5EdEEvi20rocsparse_direction_NS_24const_host_device_scalarIT2_EEPKiS6_PKS3_iiS8_S4_PS3_21rocsparse_index_base_b.has_indirect_call, 0
	.section	.AMDGPU.csdata,"",@progbits
; Kernel info:
; codeLenInByte = 1084
; TotalNumSgprs: 22
; NumVgprs: 18
; ScratchSize: 0
; MemoryBound: 0
; FloatMode: 240
; IeeeMode: 1
; LDSByteSize: 360 bytes/workgroup (compile time only)
; SGPRBlocks: 2
; VGPRBlocks: 4
; NumSGPRsForWavesPerEU: 22
; NumVGPRsForWavesPerEU: 18
; Occupancy: 10
; WaveLimiterHint : 1
; COMPUTE_PGM_RSRC2:SCRATCH_EN: 0
; COMPUTE_PGM_RSRC2:USER_SGPR: 6
; COMPUTE_PGM_RSRC2:TRAP_HANDLER: 0
; COMPUTE_PGM_RSRC2:TGID_X_EN: 1
; COMPUTE_PGM_RSRC2:TGID_Y_EN: 0
; COMPUTE_PGM_RSRC2:TGID_Z_EN: 0
; COMPUTE_PGM_RSRC2:TIDIG_COMP_CNT: 0
	.section	.text._ZN9rocsparseL22gebsrmvn_mxn_16_kernelILj54ELj9ELj6EdEEvi20rocsparse_direction_NS_24const_host_device_scalarIT2_EEPKiS6_PKS3_iiS8_S4_PS3_21rocsparse_index_base_b,"axG",@progbits,_ZN9rocsparseL22gebsrmvn_mxn_16_kernelILj54ELj9ELj6EdEEvi20rocsparse_direction_NS_24const_host_device_scalarIT2_EEPKiS6_PKS3_iiS8_S4_PS3_21rocsparse_index_base_b,comdat
	.globl	_ZN9rocsparseL22gebsrmvn_mxn_16_kernelILj54ELj9ELj6EdEEvi20rocsparse_direction_NS_24const_host_device_scalarIT2_EEPKiS6_PKS3_iiS8_S4_PS3_21rocsparse_index_base_b ; -- Begin function _ZN9rocsparseL22gebsrmvn_mxn_16_kernelILj54ELj9ELj6EdEEvi20rocsparse_direction_NS_24const_host_device_scalarIT2_EEPKiS6_PKS3_iiS8_S4_PS3_21rocsparse_index_base_b
	.p2align	8
	.type	_ZN9rocsparseL22gebsrmvn_mxn_16_kernelILj54ELj9ELj6EdEEvi20rocsparse_direction_NS_24const_host_device_scalarIT2_EEPKiS6_PKS3_iiS8_S4_PS3_21rocsparse_index_base_b,@function
_ZN9rocsparseL22gebsrmvn_mxn_16_kernelILj54ELj9ELj6EdEEvi20rocsparse_direction_NS_24const_host_device_scalarIT2_EEPKiS6_PKS3_iiS8_S4_PS3_21rocsparse_index_base_b: ; @_ZN9rocsparseL22gebsrmvn_mxn_16_kernelILj54ELj9ELj6EdEEvi20rocsparse_direction_NS_24const_host_device_scalarIT2_EEPKiS6_PKS3_iiS8_S4_PS3_21rocsparse_index_base_b
; %bb.0:
	s_load_dwordx2 s[10:11], s[4:5], 0x48
	s_load_dwordx2 s[8:9], s[4:5], 0x8
	;; [unrolled: 1-line block ×3, first 2 shown]
	s_waitcnt lgkmcnt(0)
	s_bitcmp1_b32 s11, 0
	s_cselect_b64 s[12:13], -1, 0
	v_mov_b32_e32 v3, s8
	s_xor_b64 s[2:3], s[12:13], -1
	s_and_b64 vcc, exec, s[12:13]
	v_mov_b32_e32 v4, s9
	s_cbranch_vccnz .LBB39_2
; %bb.1:
	v_mov_b32_e32 v1, s8
	v_mov_b32_e32 v2, s9
	flat_load_dwordx2 v[3:4], v[1:2]
.LBB39_2:
	v_mov_b32_e32 v2, s1
	s_andn2_b64 vcc, exec, s[2:3]
	v_mov_b32_e32 v1, s0
	s_cbranch_vccnz .LBB39_4
; %bb.3:
	v_mov_b32_e32 v2, s1
	v_mov_b32_e32 v1, s0
	flat_load_dwordx2 v[1:2], v[1:2]
.LBB39_4:
	s_waitcnt vmcnt(0) lgkmcnt(0)
	v_cmp_neq_f64_e32 vcc, 0, v[3:4]
	v_cmp_neq_f64_e64 s[0:1], 1.0, v[1:2]
	s_or_b64 s[0:1], vcc, s[0:1]
	s_and_saveexec_b64 s[2:3], s[0:1]
	s_cbranch_execz .LBB39_37
; %bb.5:
	s_load_dwordx2 s[0:1], s[4:5], 0x10
	s_load_dword s2, s[4:5], 0x4
	v_mul_u32_u24_e32 v6, 0x2aab, v0
	v_mov_b32_e32 v5, 6
	v_mul_lo_u16_sdwa v6, v6, v5 dst_sel:DWORD dst_unused:UNUSED_PAD src0_sel:WORD_1 src1_sel:DWORD
	v_sub_u16_e32 v12, v0, v6
	s_waitcnt lgkmcnt(0)
	s_cmp_lg_u32 s2, 1
	s_cselect_b64 s[12:13], -1, 0
	s_and_b64 vcc, exec, s[12:13]
	v_mov_b32_e32 v7, v12
	s_cbranch_vccnz .LBB39_7
; %bb.6:
	s_movk_i32 s2, 0x1c72
	v_mul_u32_u24_sdwa v6, v0, s2 dst_sel:DWORD dst_unused:UNUSED_PAD src0_sel:WORD_0 src1_sel:DWORD
	v_mov_b32_e32 v7, 43
	v_mul_lo_u16_sdwa v7, v6, v7 dst_sel:DWORD dst_unused:UNUSED_PAD src0_sel:WORD_1 src1_sel:DWORD
	v_mul_lo_u16_sdwa v5, v7, v5 dst_sel:DWORD dst_unused:UNUSED_PAD src0_sel:BYTE_1 src1_sel:DWORD
	v_sub_u16_sdwa v5, v6, v5 dst_sel:DWORD dst_unused:UNUSED_PAD src0_sel:WORD_1 src1_sel:DWORD
	v_and_b32_e32 v7, 0xff, v5
.LBB39_7:
	s_ashr_i32 s7, s6, 31
	s_lshl_b64 s[2:3], s[6:7], 2
	s_add_u32 s0, s0, s2
	s_addc_u32 s1, s1, s3
	s_load_dwordx2 s[16:17], s[0:1], 0x0
	s_load_dwordx2 s[8:9], s[4:5], 0x40
	v_mov_b32_e32 v5, 0
	v_mov_b32_e32 v6, 0
	s_waitcnt lgkmcnt(0)
	s_cmp_ge_i32 s16, s17
	s_cbranch_scc1 .LBB39_12
; %bb.8:
	s_load_dwordx4 s[0:3], s[4:5], 0x18
	s_load_dwordx2 s[14:15], s[4:5], 0x30
	v_mad_u64_u32 v[5:6], s[4:5], s16, 54, v[0:1]
	s_movk_i32 s4, 0x4be
	v_mul_u32_u24_sdwa v13, v0, s4 dst_sel:DWORD dst_unused:UNUSED_PAD src0_sel:WORD_0 src1_sel:DWORD
	s_mul_i32 s4, s10, 54
	v_subrev_u32_e32 v8, s4, v5
	v_mov_b32_e32 v5, 0
	s_sub_i32 s7, s17, s10
	s_sub_i32 s11, s16, s10
	v_mov_b32_e32 v6, 0
	v_mov_b32_e32 v9, 0
	s_branch .LBB39_10
.LBB39_9:                               ;   in Loop: Header=BB39_10 Depth=1
	s_or_b64 exec, exec, s[4:5]
	s_add_i32 s11, s11, 1
	s_cmp_ge_i32 s11, s7
	v_add_u32_e32 v8, 54, v8
	s_cbranch_scc1 .LBB39_12
.LBB39_10:                              ; =>This Inner Loop Header: Depth=1
	v_add_u32_sdwa v10, v13, s11 dst_sel:DWORD dst_unused:UNUSED_PAD src0_sel:WORD_1 src1_sel:DWORD
	v_cmp_gt_i32_e32 vcc, s7, v10
	s_and_saveexec_b64 s[4:5], vcc
	s_cbranch_execz .LBB39_9
; %bb.11:                               ;   in Loop: Header=BB39_10 Depth=1
	v_ashrrev_i32_e32 v11, 31, v10
	v_lshlrev_b64 v[10:11], 2, v[10:11]
	s_waitcnt lgkmcnt(0)
	v_mov_b32_e32 v14, s1
	v_add_co_u32_e32 v10, vcc, s0, v10
	v_addc_co_u32_e32 v11, vcc, v14, v11, vcc
	global_load_dword v14, v[10:11], off
	v_lshlrev_b64 v[10:11], 3, v[8:9]
	v_mov_b32_e32 v16, s3
	v_add_co_u32_e32 v10, vcc, s2, v10
	v_addc_co_u32_e32 v11, vcc, v16, v11, vcc
	v_mov_b32_e32 v17, s15
	global_load_dwordx2 v[10:11], v[10:11], off
	s_waitcnt vmcnt(1)
	v_subrev_u32_e32 v14, s10, v14
	v_mad_u64_u32 v[14:15], s[16:17], v14, 6, v[7:8]
	v_ashrrev_i32_e32 v15, 31, v14
	v_lshlrev_b64 v[14:15], 3, v[14:15]
	v_add_co_u32_e32 v14, vcc, s14, v14
	v_addc_co_u32_e32 v15, vcc, v17, v15, vcc
	global_load_dwordx2 v[14:15], v[14:15], off
	s_waitcnt vmcnt(0)
	v_fma_f64 v[5:6], v[10:11], v[14:15], v[5:6]
	s_branch .LBB39_9
.LBB39_12:
	v_lshlrev_b32_e32 v9, 3, v0
	s_and_b64 vcc, exec, s[12:13]
	ds_write_b64 v9, v[5:6]
	s_waitcnt lgkmcnt(0)
	; wave barrier
	s_cbranch_vccz .LBB39_22
; %bb.13:
	v_cmp_gt_u16_e32 vcc, 2, v12
	s_and_saveexec_b64 s[0:1], vcc
	s_cbranch_execz .LBB39_15
; %bb.14:
	ds_read2_b64 v[13:16], v9 offset1:4
	s_waitcnt lgkmcnt(0)
	v_add_f64 v[7:8], v[15:16], v[13:14]
	ds_write_b64 v9, v[7:8]
.LBB39_15:
	s_or_b64 exec, exec, s[0:1]
	s_waitcnt lgkmcnt(0)
	; wave barrier
	s_and_saveexec_b64 s[0:1], vcc
	s_cbranch_execz .LBB39_17
; %bb.16:
	ds_read2_b64 v[13:16], v9 offset1:2
	s_waitcnt lgkmcnt(0)
	v_add_f64 v[7:8], v[15:16], v[13:14]
	ds_write_b64 v9, v[7:8]
.LBB39_17:
	s_or_b64 exec, exec, s[0:1]
	v_cmp_eq_u16_e32 vcc, 0, v12
	s_waitcnt lgkmcnt(0)
	; wave barrier
	s_and_saveexec_b64 s[0:1], vcc
	s_cbranch_execz .LBB39_19
; %bb.18:
	ds_read2_b64 v[10:13], v9 offset1:1
	s_waitcnt lgkmcnt(0)
	v_add_f64 v[7:8], v[12:13], v[10:11]
	ds_write_b64 v9, v[7:8]
.LBB39_19:
	s_or_b64 exec, exec, s[0:1]
	v_mov_b32_e32 v8, v6
	v_cmp_gt_u32_e32 vcc, 9, v0
	v_mov_b32_e32 v7, v5
	s_waitcnt lgkmcnt(0)
	; wave barrier
	s_and_saveexec_b64 s[0:1], vcc
; %bb.20:
	v_mad_u32_u24 v7, v0, 40, v9
	ds_read_b64 v[7:8], v7
; %bb.21:
	s_or_b64 exec, exec, s[0:1]
	s_branch .LBB39_32
.LBB39_22:
                                        ; implicit-def: $vgpr7_vgpr8
	s_cbranch_execz .LBB39_32
; %bb.23:
	v_cmp_gt_u32_e32 vcc, 18, v0
	s_and_saveexec_b64 s[0:1], vcc
	s_cbranch_execz .LBB39_25
; %bb.24:
	ds_read2_b64 v[10:13], v9 offset1:36
	s_waitcnt lgkmcnt(0)
	v_add_f64 v[7:8], v[12:13], v[10:11]
	ds_write_b64 v9, v[7:8]
.LBB39_25:
	s_or_b64 exec, exec, s[0:1]
	s_waitcnt lgkmcnt(0)
	; wave barrier
	s_and_saveexec_b64 s[0:1], vcc
	s_cbranch_execz .LBB39_27
; %bb.26:
	ds_read2_b64 v[10:13], v9 offset1:18
	s_waitcnt lgkmcnt(0)
	v_add_f64 v[7:8], v[12:13], v[10:11]
	ds_write_b64 v9, v[7:8]
.LBB39_27:
	s_or_b64 exec, exec, s[0:1]
	v_cmp_lt_u32_e32 vcc, 8, v0
	s_waitcnt lgkmcnt(0)
	s_and_saveexec_b64 s[0:1], vcc
	s_xor_b64 s[0:1], exec, s[0:1]
; %bb.28:
                                        ; implicit-def: $vgpr9
; %bb.29:
	s_andn2_saveexec_b64 s[0:1], s[0:1]
	s_cbranch_execz .LBB39_31
; %bb.30:
	ds_read2_b64 v[5:8], v9 offset1:9
	s_waitcnt lgkmcnt(0)
	v_add_f64 v[5:6], v[7:8], v[5:6]
	ds_write_b64 v9, v[5:6]
	s_waitcnt lgkmcnt(0)
	ds_read_b64 v[5:6], v9
.LBB39_31:
	s_or_b64 exec, exec, s[0:1]
	s_waitcnt lgkmcnt(0)
	v_mov_b32_e32 v8, v6
	v_mov_b32_e32 v7, v5
.LBB39_32:
	v_cmp_gt_u32_e32 vcc, 9, v0
	s_and_b64 exec, exec, vcc
	s_cbranch_execz .LBB39_37
; %bb.33:
	v_cmp_eq_f64_e32 vcc, 0, v[1:2]
	s_waitcnt lgkmcnt(0)
	v_mul_f64 v[3:4], v[3:4], v[7:8]
	s_and_saveexec_b64 s[0:1], vcc
	s_xor_b64 s[0:1], exec, s[0:1]
	s_cbranch_execz .LBB39_35
; %bb.34:
	v_mad_u64_u32 v[0:1], s[2:3], s6, 9, v[0:1]
	v_mov_b32_e32 v1, 0
	v_mov_b32_e32 v2, s9
	v_lshlrev_b64 v[0:1], 3, v[0:1]
	v_add_co_u32_e32 v0, vcc, s8, v0
	v_addc_co_u32_e32 v1, vcc, v2, v1, vcc
	global_store_dwordx2 v[0:1], v[3:4], off
                                        ; implicit-def: $vgpr0
                                        ; implicit-def: $vgpr1_vgpr2
                                        ; implicit-def: $vgpr3_vgpr4
.LBB39_35:
	s_andn2_saveexec_b64 s[0:1], s[0:1]
	s_cbranch_execz .LBB39_37
; %bb.36:
	v_mad_u64_u32 v[5:6], s[0:1], s6, 9, v[0:1]
	v_mov_b32_e32 v6, 0
	v_mov_b32_e32 v0, s9
	v_lshlrev_b64 v[5:6], 3, v[5:6]
	v_add_co_u32_e32 v5, vcc, s8, v5
	v_addc_co_u32_e32 v6, vcc, v0, v6, vcc
	global_load_dwordx2 v[7:8], v[5:6], off
	s_waitcnt vmcnt(0)
	v_fma_f64 v[0:1], v[1:2], v[7:8], v[3:4]
	global_store_dwordx2 v[5:6], v[0:1], off
.LBB39_37:
	s_endpgm
	.section	.rodata,"a",@progbits
	.p2align	6, 0x0
	.amdhsa_kernel _ZN9rocsparseL22gebsrmvn_mxn_16_kernelILj54ELj9ELj6EdEEvi20rocsparse_direction_NS_24const_host_device_scalarIT2_EEPKiS6_PKS3_iiS8_S4_PS3_21rocsparse_index_base_b
		.amdhsa_group_segment_fixed_size 432
		.amdhsa_private_segment_fixed_size 0
		.amdhsa_kernarg_size 80
		.amdhsa_user_sgpr_count 6
		.amdhsa_user_sgpr_private_segment_buffer 1
		.amdhsa_user_sgpr_dispatch_ptr 0
		.amdhsa_user_sgpr_queue_ptr 0
		.amdhsa_user_sgpr_kernarg_segment_ptr 1
		.amdhsa_user_sgpr_dispatch_id 0
		.amdhsa_user_sgpr_flat_scratch_init 0
		.amdhsa_user_sgpr_private_segment_size 0
		.amdhsa_uses_dynamic_stack 0
		.amdhsa_system_sgpr_private_segment_wavefront_offset 0
		.amdhsa_system_sgpr_workgroup_id_x 1
		.amdhsa_system_sgpr_workgroup_id_y 0
		.amdhsa_system_sgpr_workgroup_id_z 0
		.amdhsa_system_sgpr_workgroup_info 0
		.amdhsa_system_vgpr_workitem_id 0
		.amdhsa_next_free_vgpr 18
		.amdhsa_next_free_sgpr 18
		.amdhsa_reserve_vcc 1
		.amdhsa_reserve_flat_scratch 0
		.amdhsa_float_round_mode_32 0
		.amdhsa_float_round_mode_16_64 0
		.amdhsa_float_denorm_mode_32 3
		.amdhsa_float_denorm_mode_16_64 3
		.amdhsa_dx10_clamp 1
		.amdhsa_ieee_mode 1
		.amdhsa_fp16_overflow 0
		.amdhsa_exception_fp_ieee_invalid_op 0
		.amdhsa_exception_fp_denorm_src 0
		.amdhsa_exception_fp_ieee_div_zero 0
		.amdhsa_exception_fp_ieee_overflow 0
		.amdhsa_exception_fp_ieee_underflow 0
		.amdhsa_exception_fp_ieee_inexact 0
		.amdhsa_exception_int_div_zero 0
	.end_amdhsa_kernel
	.section	.text._ZN9rocsparseL22gebsrmvn_mxn_16_kernelILj54ELj9ELj6EdEEvi20rocsparse_direction_NS_24const_host_device_scalarIT2_EEPKiS6_PKS3_iiS8_S4_PS3_21rocsparse_index_base_b,"axG",@progbits,_ZN9rocsparseL22gebsrmvn_mxn_16_kernelILj54ELj9ELj6EdEEvi20rocsparse_direction_NS_24const_host_device_scalarIT2_EEPKiS6_PKS3_iiS8_S4_PS3_21rocsparse_index_base_b,comdat
.Lfunc_end39:
	.size	_ZN9rocsparseL22gebsrmvn_mxn_16_kernelILj54ELj9ELj6EdEEvi20rocsparse_direction_NS_24const_host_device_scalarIT2_EEPKiS6_PKS3_iiS8_S4_PS3_21rocsparse_index_base_b, .Lfunc_end39-_ZN9rocsparseL22gebsrmvn_mxn_16_kernelILj54ELj9ELj6EdEEvi20rocsparse_direction_NS_24const_host_device_scalarIT2_EEPKiS6_PKS3_iiS8_S4_PS3_21rocsparse_index_base_b
                                        ; -- End function
	.set _ZN9rocsparseL22gebsrmvn_mxn_16_kernelILj54ELj9ELj6EdEEvi20rocsparse_direction_NS_24const_host_device_scalarIT2_EEPKiS6_PKS3_iiS8_S4_PS3_21rocsparse_index_base_b.num_vgpr, 18
	.set _ZN9rocsparseL22gebsrmvn_mxn_16_kernelILj54ELj9ELj6EdEEvi20rocsparse_direction_NS_24const_host_device_scalarIT2_EEPKiS6_PKS3_iiS8_S4_PS3_21rocsparse_index_base_b.num_agpr, 0
	.set _ZN9rocsparseL22gebsrmvn_mxn_16_kernelILj54ELj9ELj6EdEEvi20rocsparse_direction_NS_24const_host_device_scalarIT2_EEPKiS6_PKS3_iiS8_S4_PS3_21rocsparse_index_base_b.numbered_sgpr, 18
	.set _ZN9rocsparseL22gebsrmvn_mxn_16_kernelILj54ELj9ELj6EdEEvi20rocsparse_direction_NS_24const_host_device_scalarIT2_EEPKiS6_PKS3_iiS8_S4_PS3_21rocsparse_index_base_b.num_named_barrier, 0
	.set _ZN9rocsparseL22gebsrmvn_mxn_16_kernelILj54ELj9ELj6EdEEvi20rocsparse_direction_NS_24const_host_device_scalarIT2_EEPKiS6_PKS3_iiS8_S4_PS3_21rocsparse_index_base_b.private_seg_size, 0
	.set _ZN9rocsparseL22gebsrmvn_mxn_16_kernelILj54ELj9ELj6EdEEvi20rocsparse_direction_NS_24const_host_device_scalarIT2_EEPKiS6_PKS3_iiS8_S4_PS3_21rocsparse_index_base_b.uses_vcc, 1
	.set _ZN9rocsparseL22gebsrmvn_mxn_16_kernelILj54ELj9ELj6EdEEvi20rocsparse_direction_NS_24const_host_device_scalarIT2_EEPKiS6_PKS3_iiS8_S4_PS3_21rocsparse_index_base_b.uses_flat_scratch, 0
	.set _ZN9rocsparseL22gebsrmvn_mxn_16_kernelILj54ELj9ELj6EdEEvi20rocsparse_direction_NS_24const_host_device_scalarIT2_EEPKiS6_PKS3_iiS8_S4_PS3_21rocsparse_index_base_b.has_dyn_sized_stack, 0
	.set _ZN9rocsparseL22gebsrmvn_mxn_16_kernelILj54ELj9ELj6EdEEvi20rocsparse_direction_NS_24const_host_device_scalarIT2_EEPKiS6_PKS3_iiS8_S4_PS3_21rocsparse_index_base_b.has_recursion, 0
	.set _ZN9rocsparseL22gebsrmvn_mxn_16_kernelILj54ELj9ELj6EdEEvi20rocsparse_direction_NS_24const_host_device_scalarIT2_EEPKiS6_PKS3_iiS8_S4_PS3_21rocsparse_index_base_b.has_indirect_call, 0
	.section	.AMDGPU.csdata,"",@progbits
; Kernel info:
; codeLenInByte = 1060
; TotalNumSgprs: 22
; NumVgprs: 18
; ScratchSize: 0
; MemoryBound: 0
; FloatMode: 240
; IeeeMode: 1
; LDSByteSize: 432 bytes/workgroup (compile time only)
; SGPRBlocks: 2
; VGPRBlocks: 4
; NumSGPRsForWavesPerEU: 22
; NumVGPRsForWavesPerEU: 18
; Occupancy: 10
; WaveLimiterHint : 1
; COMPUTE_PGM_RSRC2:SCRATCH_EN: 0
; COMPUTE_PGM_RSRC2:USER_SGPR: 6
; COMPUTE_PGM_RSRC2:TRAP_HANDLER: 0
; COMPUTE_PGM_RSRC2:TGID_X_EN: 1
; COMPUTE_PGM_RSRC2:TGID_Y_EN: 0
; COMPUTE_PGM_RSRC2:TGID_Z_EN: 0
; COMPUTE_PGM_RSRC2:TIDIG_COMP_CNT: 0
	.section	.text._ZN9rocsparseL22gebsrmvn_mxn_16_kernelILj63ELj9ELj7EdEEvi20rocsparse_direction_NS_24const_host_device_scalarIT2_EEPKiS6_PKS3_iiS8_S4_PS3_21rocsparse_index_base_b,"axG",@progbits,_ZN9rocsparseL22gebsrmvn_mxn_16_kernelILj63ELj9ELj7EdEEvi20rocsparse_direction_NS_24const_host_device_scalarIT2_EEPKiS6_PKS3_iiS8_S4_PS3_21rocsparse_index_base_b,comdat
	.globl	_ZN9rocsparseL22gebsrmvn_mxn_16_kernelILj63ELj9ELj7EdEEvi20rocsparse_direction_NS_24const_host_device_scalarIT2_EEPKiS6_PKS3_iiS8_S4_PS3_21rocsparse_index_base_b ; -- Begin function _ZN9rocsparseL22gebsrmvn_mxn_16_kernelILj63ELj9ELj7EdEEvi20rocsparse_direction_NS_24const_host_device_scalarIT2_EEPKiS6_PKS3_iiS8_S4_PS3_21rocsparse_index_base_b
	.p2align	8
	.type	_ZN9rocsparseL22gebsrmvn_mxn_16_kernelILj63ELj9ELj7EdEEvi20rocsparse_direction_NS_24const_host_device_scalarIT2_EEPKiS6_PKS3_iiS8_S4_PS3_21rocsparse_index_base_b,@function
_ZN9rocsparseL22gebsrmvn_mxn_16_kernelILj63ELj9ELj7EdEEvi20rocsparse_direction_NS_24const_host_device_scalarIT2_EEPKiS6_PKS3_iiS8_S4_PS3_21rocsparse_index_base_b: ; @_ZN9rocsparseL22gebsrmvn_mxn_16_kernelILj63ELj9ELj7EdEEvi20rocsparse_direction_NS_24const_host_device_scalarIT2_EEPKiS6_PKS3_iiS8_S4_PS3_21rocsparse_index_base_b
; %bb.0:
	s_load_dwordx2 s[10:11], s[4:5], 0x48
	s_load_dwordx2 s[8:9], s[4:5], 0x8
	;; [unrolled: 1-line block ×3, first 2 shown]
	s_waitcnt lgkmcnt(0)
	s_bitcmp1_b32 s11, 0
	s_cselect_b64 s[12:13], -1, 0
	v_mov_b32_e32 v3, s8
	s_xor_b64 s[2:3], s[12:13], -1
	s_and_b64 vcc, exec, s[12:13]
	v_mov_b32_e32 v4, s9
	s_cbranch_vccnz .LBB40_2
; %bb.1:
	v_mov_b32_e32 v1, s8
	v_mov_b32_e32 v2, s9
	flat_load_dwordx2 v[3:4], v[1:2]
.LBB40_2:
	v_mov_b32_e32 v2, s1
	s_andn2_b64 vcc, exec, s[2:3]
	v_mov_b32_e32 v1, s0
	s_cbranch_vccnz .LBB40_4
; %bb.3:
	v_mov_b32_e32 v2, s1
	v_mov_b32_e32 v1, s0
	flat_load_dwordx2 v[1:2], v[1:2]
.LBB40_4:
	s_waitcnt vmcnt(0) lgkmcnt(0)
	v_cmp_neq_f64_e32 vcc, 0, v[3:4]
	v_cmp_neq_f64_e64 s[0:1], 1.0, v[1:2]
	s_or_b64 s[0:1], vcc, s[0:1]
	s_and_saveexec_b64 s[2:3], s[0:1]
	s_cbranch_execz .LBB40_37
; %bb.5:
	s_load_dwordx2 s[0:1], s[4:5], 0x10
	s_load_dword s2, s[4:5], 0x4
	v_mul_u32_u24_e32 v6, 0x2493, v0
	v_mov_b32_e32 v5, 7
	v_mul_lo_u16_sdwa v6, v6, v5 dst_sel:DWORD dst_unused:UNUSED_PAD src0_sel:WORD_1 src1_sel:DWORD
	v_sub_u16_e32 v12, v0, v6
	s_waitcnt lgkmcnt(0)
	s_cmp_lg_u32 s2, 1
	s_cselect_b64 s[12:13], -1, 0
	s_and_b64 vcc, exec, s[12:13]
	v_mov_b32_e32 v7, v12
	s_cbranch_vccnz .LBB40_7
; %bb.6:
	s_movk_i32 s2, 0x1c72
	v_mul_u32_u24_sdwa v6, v0, s2 dst_sel:DWORD dst_unused:UNUSED_PAD src0_sel:WORD_0 src1_sel:DWORD
	v_mov_b32_e32 v7, 37
	v_mul_lo_u16_sdwa v7, v6, v7 dst_sel:DWORD dst_unused:UNUSED_PAD src0_sel:WORD_1 src1_sel:DWORD
	v_mul_lo_u16_sdwa v5, v7, v5 dst_sel:DWORD dst_unused:UNUSED_PAD src0_sel:BYTE_1 src1_sel:DWORD
	v_sub_u16_sdwa v5, v6, v5 dst_sel:DWORD dst_unused:UNUSED_PAD src0_sel:WORD_1 src1_sel:DWORD
	v_and_b32_e32 v7, 0xff, v5
.LBB40_7:
	s_ashr_i32 s7, s6, 31
	s_lshl_b64 s[2:3], s[6:7], 2
	s_add_u32 s0, s0, s2
	s_addc_u32 s1, s1, s3
	s_load_dwordx2 s[16:17], s[0:1], 0x0
	s_load_dwordx2 s[8:9], s[4:5], 0x40
	v_mov_b32_e32 v5, 0
	v_mov_b32_e32 v6, 0
	s_waitcnt lgkmcnt(0)
	s_cmp_ge_i32 s16, s17
	s_cbranch_scc1 .LBB40_12
; %bb.8:
	s_load_dwordx4 s[0:3], s[4:5], 0x18
	s_load_dwordx2 s[14:15], s[4:5], 0x30
	v_mad_u64_u32 v[5:6], s[4:5], s16, 63, v[0:1]
	s_movk_i32 s4, 0x411
	v_mul_u32_u24_sdwa v13, v0, s4 dst_sel:DWORD dst_unused:UNUSED_PAD src0_sel:WORD_0 src1_sel:DWORD
	s_mul_i32 s4, s10, 63
	v_subrev_u32_e32 v8, s4, v5
	v_mov_b32_e32 v5, 0
	s_sub_i32 s7, s17, s10
	s_sub_i32 s11, s16, s10
	v_mov_b32_e32 v6, 0
	v_mov_b32_e32 v9, 0
	s_branch .LBB40_10
.LBB40_9:                               ;   in Loop: Header=BB40_10 Depth=1
	s_or_b64 exec, exec, s[4:5]
	s_add_i32 s11, s11, 1
	s_cmp_ge_i32 s11, s7
	v_add_u32_e32 v8, 63, v8
	s_cbranch_scc1 .LBB40_12
.LBB40_10:                              ; =>This Inner Loop Header: Depth=1
	v_add_u32_sdwa v10, v13, s11 dst_sel:DWORD dst_unused:UNUSED_PAD src0_sel:WORD_1 src1_sel:DWORD
	v_cmp_gt_i32_e32 vcc, s7, v10
	s_and_saveexec_b64 s[4:5], vcc
	s_cbranch_execz .LBB40_9
; %bb.11:                               ;   in Loop: Header=BB40_10 Depth=1
	v_ashrrev_i32_e32 v11, 31, v10
	v_lshlrev_b64 v[10:11], 2, v[10:11]
	s_waitcnt lgkmcnt(0)
	v_mov_b32_e32 v14, s1
	v_add_co_u32_e32 v10, vcc, s0, v10
	v_addc_co_u32_e32 v11, vcc, v14, v11, vcc
	global_load_dword v14, v[10:11], off
	v_lshlrev_b64 v[10:11], 3, v[8:9]
	v_mov_b32_e32 v16, s3
	v_add_co_u32_e32 v10, vcc, s2, v10
	v_addc_co_u32_e32 v11, vcc, v16, v11, vcc
	v_mov_b32_e32 v17, s15
	global_load_dwordx2 v[10:11], v[10:11], off
	s_waitcnt vmcnt(1)
	v_subrev_u32_e32 v14, s10, v14
	v_mad_u64_u32 v[14:15], s[16:17], v14, 7, v[7:8]
	v_ashrrev_i32_e32 v15, 31, v14
	v_lshlrev_b64 v[14:15], 3, v[14:15]
	v_add_co_u32_e32 v14, vcc, s14, v14
	v_addc_co_u32_e32 v15, vcc, v17, v15, vcc
	global_load_dwordx2 v[14:15], v[14:15], off
	s_waitcnt vmcnt(0)
	v_fma_f64 v[5:6], v[10:11], v[14:15], v[5:6]
	s_branch .LBB40_9
.LBB40_12:
	v_lshlrev_b32_e32 v9, 3, v0
	s_and_b64 vcc, exec, s[12:13]
	ds_write_b64 v9, v[5:6]
	s_waitcnt lgkmcnt(0)
	; wave barrier
	s_cbranch_vccz .LBB40_22
; %bb.13:
	v_cmp_gt_u16_e32 vcc, 3, v12
	s_and_saveexec_b64 s[0:1], vcc
	s_cbranch_execz .LBB40_15
; %bb.14:
	ds_read2_b64 v[13:16], v9 offset1:4
	s_waitcnt lgkmcnt(0)
	v_add_f64 v[7:8], v[15:16], v[13:14]
	ds_write_b64 v9, v[7:8]
.LBB40_15:
	s_or_b64 exec, exec, s[0:1]
	v_cmp_gt_u16_e32 vcc, 2, v12
	s_waitcnt lgkmcnt(0)
	; wave barrier
	s_and_saveexec_b64 s[0:1], vcc
	s_cbranch_execz .LBB40_17
; %bb.16:
	ds_read2_b64 v[13:16], v9 offset1:2
	s_waitcnt lgkmcnt(0)
	v_add_f64 v[7:8], v[15:16], v[13:14]
	ds_write_b64 v9, v[7:8]
.LBB40_17:
	s_or_b64 exec, exec, s[0:1]
	v_cmp_eq_u16_e32 vcc, 0, v12
	s_waitcnt lgkmcnt(0)
	; wave barrier
	s_and_saveexec_b64 s[0:1], vcc
	s_cbranch_execz .LBB40_19
; %bb.18:
	ds_read2_b64 v[10:13], v9 offset1:1
	s_waitcnt lgkmcnt(0)
	v_add_f64 v[7:8], v[12:13], v[10:11]
	ds_write_b64 v9, v[7:8]
.LBB40_19:
	s_or_b64 exec, exec, s[0:1]
	v_mov_b32_e32 v8, v6
	v_cmp_gt_u32_e32 vcc, 9, v0
	v_mov_b32_e32 v7, v5
	s_waitcnt lgkmcnt(0)
	; wave barrier
	s_and_saveexec_b64 s[0:1], vcc
; %bb.20:
	v_mad_u32_u24 v7, v0, 48, v9
	ds_read_b64 v[7:8], v7
; %bb.21:
	s_or_b64 exec, exec, s[0:1]
	s_branch .LBB40_32
.LBB40_22:
                                        ; implicit-def: $vgpr7_vgpr8
	s_cbranch_execz .LBB40_32
; %bb.23:
	v_cmp_gt_u32_e32 vcc, 27, v0
	s_and_saveexec_b64 s[0:1], vcc
	s_cbranch_execz .LBB40_25
; %bb.24:
	ds_read2_b64 v[10:13], v9 offset1:36
	s_waitcnt lgkmcnt(0)
	v_add_f64 v[7:8], v[12:13], v[10:11]
	ds_write_b64 v9, v[7:8]
.LBB40_25:
	s_or_b64 exec, exec, s[0:1]
	v_cmp_gt_u32_e32 vcc, 18, v0
	s_waitcnt lgkmcnt(0)
	; wave barrier
	s_and_saveexec_b64 s[0:1], vcc
	s_cbranch_execz .LBB40_27
; %bb.26:
	ds_read2_b64 v[10:13], v9 offset1:18
	s_waitcnt lgkmcnt(0)
	v_add_f64 v[7:8], v[12:13], v[10:11]
	ds_write_b64 v9, v[7:8]
.LBB40_27:
	s_or_b64 exec, exec, s[0:1]
	v_cmp_lt_u32_e32 vcc, 8, v0
	s_waitcnt lgkmcnt(0)
	s_and_saveexec_b64 s[0:1], vcc
	s_xor_b64 s[0:1], exec, s[0:1]
; %bb.28:
                                        ; implicit-def: $vgpr9
; %bb.29:
	s_andn2_saveexec_b64 s[0:1], s[0:1]
	s_cbranch_execz .LBB40_31
; %bb.30:
	ds_read2_b64 v[5:8], v9 offset1:9
	s_waitcnt lgkmcnt(0)
	v_add_f64 v[5:6], v[7:8], v[5:6]
	ds_write_b64 v9, v[5:6]
	s_waitcnt lgkmcnt(0)
	ds_read_b64 v[5:6], v9
.LBB40_31:
	s_or_b64 exec, exec, s[0:1]
	s_waitcnt lgkmcnt(0)
	v_mov_b32_e32 v8, v6
	v_mov_b32_e32 v7, v5
.LBB40_32:
	v_cmp_gt_u32_e32 vcc, 9, v0
	s_and_b64 exec, exec, vcc
	s_cbranch_execz .LBB40_37
; %bb.33:
	v_cmp_eq_f64_e32 vcc, 0, v[1:2]
	s_waitcnt lgkmcnt(0)
	v_mul_f64 v[3:4], v[3:4], v[7:8]
	s_and_saveexec_b64 s[0:1], vcc
	s_xor_b64 s[0:1], exec, s[0:1]
	s_cbranch_execz .LBB40_35
; %bb.34:
	v_mad_u64_u32 v[0:1], s[2:3], s6, 9, v[0:1]
	v_mov_b32_e32 v1, 0
	v_mov_b32_e32 v2, s9
	v_lshlrev_b64 v[0:1], 3, v[0:1]
	v_add_co_u32_e32 v0, vcc, s8, v0
	v_addc_co_u32_e32 v1, vcc, v2, v1, vcc
	global_store_dwordx2 v[0:1], v[3:4], off
                                        ; implicit-def: $vgpr0
                                        ; implicit-def: $vgpr1_vgpr2
                                        ; implicit-def: $vgpr3_vgpr4
.LBB40_35:
	s_andn2_saveexec_b64 s[0:1], s[0:1]
	s_cbranch_execz .LBB40_37
; %bb.36:
	v_mad_u64_u32 v[5:6], s[0:1], s6, 9, v[0:1]
	v_mov_b32_e32 v6, 0
	v_mov_b32_e32 v0, s9
	v_lshlrev_b64 v[5:6], 3, v[5:6]
	v_add_co_u32_e32 v5, vcc, s8, v5
	v_addc_co_u32_e32 v6, vcc, v0, v6, vcc
	global_load_dwordx2 v[7:8], v[5:6], off
	s_waitcnt vmcnt(0)
	v_fma_f64 v[0:1], v[1:2], v[7:8], v[3:4]
	global_store_dwordx2 v[5:6], v[0:1], off
.LBB40_37:
	s_endpgm
	.section	.rodata,"a",@progbits
	.p2align	6, 0x0
	.amdhsa_kernel _ZN9rocsparseL22gebsrmvn_mxn_16_kernelILj63ELj9ELj7EdEEvi20rocsparse_direction_NS_24const_host_device_scalarIT2_EEPKiS6_PKS3_iiS8_S4_PS3_21rocsparse_index_base_b
		.amdhsa_group_segment_fixed_size 504
		.amdhsa_private_segment_fixed_size 0
		.amdhsa_kernarg_size 80
		.amdhsa_user_sgpr_count 6
		.amdhsa_user_sgpr_private_segment_buffer 1
		.amdhsa_user_sgpr_dispatch_ptr 0
		.amdhsa_user_sgpr_queue_ptr 0
		.amdhsa_user_sgpr_kernarg_segment_ptr 1
		.amdhsa_user_sgpr_dispatch_id 0
		.amdhsa_user_sgpr_flat_scratch_init 0
		.amdhsa_user_sgpr_private_segment_size 0
		.amdhsa_uses_dynamic_stack 0
		.amdhsa_system_sgpr_private_segment_wavefront_offset 0
		.amdhsa_system_sgpr_workgroup_id_x 1
		.amdhsa_system_sgpr_workgroup_id_y 0
		.amdhsa_system_sgpr_workgroup_id_z 0
		.amdhsa_system_sgpr_workgroup_info 0
		.amdhsa_system_vgpr_workitem_id 0
		.amdhsa_next_free_vgpr 18
		.amdhsa_next_free_sgpr 18
		.amdhsa_reserve_vcc 1
		.amdhsa_reserve_flat_scratch 0
		.amdhsa_float_round_mode_32 0
		.amdhsa_float_round_mode_16_64 0
		.amdhsa_float_denorm_mode_32 3
		.amdhsa_float_denorm_mode_16_64 3
		.amdhsa_dx10_clamp 1
		.amdhsa_ieee_mode 1
		.amdhsa_fp16_overflow 0
		.amdhsa_exception_fp_ieee_invalid_op 0
		.amdhsa_exception_fp_denorm_src 0
		.amdhsa_exception_fp_ieee_div_zero 0
		.amdhsa_exception_fp_ieee_overflow 0
		.amdhsa_exception_fp_ieee_underflow 0
		.amdhsa_exception_fp_ieee_inexact 0
		.amdhsa_exception_int_div_zero 0
	.end_amdhsa_kernel
	.section	.text._ZN9rocsparseL22gebsrmvn_mxn_16_kernelILj63ELj9ELj7EdEEvi20rocsparse_direction_NS_24const_host_device_scalarIT2_EEPKiS6_PKS3_iiS8_S4_PS3_21rocsparse_index_base_b,"axG",@progbits,_ZN9rocsparseL22gebsrmvn_mxn_16_kernelILj63ELj9ELj7EdEEvi20rocsparse_direction_NS_24const_host_device_scalarIT2_EEPKiS6_PKS3_iiS8_S4_PS3_21rocsparse_index_base_b,comdat
.Lfunc_end40:
	.size	_ZN9rocsparseL22gebsrmvn_mxn_16_kernelILj63ELj9ELj7EdEEvi20rocsparse_direction_NS_24const_host_device_scalarIT2_EEPKiS6_PKS3_iiS8_S4_PS3_21rocsparse_index_base_b, .Lfunc_end40-_ZN9rocsparseL22gebsrmvn_mxn_16_kernelILj63ELj9ELj7EdEEvi20rocsparse_direction_NS_24const_host_device_scalarIT2_EEPKiS6_PKS3_iiS8_S4_PS3_21rocsparse_index_base_b
                                        ; -- End function
	.set _ZN9rocsparseL22gebsrmvn_mxn_16_kernelILj63ELj9ELj7EdEEvi20rocsparse_direction_NS_24const_host_device_scalarIT2_EEPKiS6_PKS3_iiS8_S4_PS3_21rocsparse_index_base_b.num_vgpr, 18
	.set _ZN9rocsparseL22gebsrmvn_mxn_16_kernelILj63ELj9ELj7EdEEvi20rocsparse_direction_NS_24const_host_device_scalarIT2_EEPKiS6_PKS3_iiS8_S4_PS3_21rocsparse_index_base_b.num_agpr, 0
	.set _ZN9rocsparseL22gebsrmvn_mxn_16_kernelILj63ELj9ELj7EdEEvi20rocsparse_direction_NS_24const_host_device_scalarIT2_EEPKiS6_PKS3_iiS8_S4_PS3_21rocsparse_index_base_b.numbered_sgpr, 18
	.set _ZN9rocsparseL22gebsrmvn_mxn_16_kernelILj63ELj9ELj7EdEEvi20rocsparse_direction_NS_24const_host_device_scalarIT2_EEPKiS6_PKS3_iiS8_S4_PS3_21rocsparse_index_base_b.num_named_barrier, 0
	.set _ZN9rocsparseL22gebsrmvn_mxn_16_kernelILj63ELj9ELj7EdEEvi20rocsparse_direction_NS_24const_host_device_scalarIT2_EEPKiS6_PKS3_iiS8_S4_PS3_21rocsparse_index_base_b.private_seg_size, 0
	.set _ZN9rocsparseL22gebsrmvn_mxn_16_kernelILj63ELj9ELj7EdEEvi20rocsparse_direction_NS_24const_host_device_scalarIT2_EEPKiS6_PKS3_iiS8_S4_PS3_21rocsparse_index_base_b.uses_vcc, 1
	.set _ZN9rocsparseL22gebsrmvn_mxn_16_kernelILj63ELj9ELj7EdEEvi20rocsparse_direction_NS_24const_host_device_scalarIT2_EEPKiS6_PKS3_iiS8_S4_PS3_21rocsparse_index_base_b.uses_flat_scratch, 0
	.set _ZN9rocsparseL22gebsrmvn_mxn_16_kernelILj63ELj9ELj7EdEEvi20rocsparse_direction_NS_24const_host_device_scalarIT2_EEPKiS6_PKS3_iiS8_S4_PS3_21rocsparse_index_base_b.has_dyn_sized_stack, 0
	.set _ZN9rocsparseL22gebsrmvn_mxn_16_kernelILj63ELj9ELj7EdEEvi20rocsparse_direction_NS_24const_host_device_scalarIT2_EEPKiS6_PKS3_iiS8_S4_PS3_21rocsparse_index_base_b.has_recursion, 0
	.set _ZN9rocsparseL22gebsrmvn_mxn_16_kernelILj63ELj9ELj7EdEEvi20rocsparse_direction_NS_24const_host_device_scalarIT2_EEPKiS6_PKS3_iiS8_S4_PS3_21rocsparse_index_base_b.has_indirect_call, 0
	.section	.AMDGPU.csdata,"",@progbits
; Kernel info:
; codeLenInByte = 1068
; TotalNumSgprs: 22
; NumVgprs: 18
; ScratchSize: 0
; MemoryBound: 0
; FloatMode: 240
; IeeeMode: 1
; LDSByteSize: 504 bytes/workgroup (compile time only)
; SGPRBlocks: 2
; VGPRBlocks: 4
; NumSGPRsForWavesPerEU: 22
; NumVGPRsForWavesPerEU: 18
; Occupancy: 10
; WaveLimiterHint : 1
; COMPUTE_PGM_RSRC2:SCRATCH_EN: 0
; COMPUTE_PGM_RSRC2:USER_SGPR: 6
; COMPUTE_PGM_RSRC2:TRAP_HANDLER: 0
; COMPUTE_PGM_RSRC2:TGID_X_EN: 1
; COMPUTE_PGM_RSRC2:TGID_Y_EN: 0
; COMPUTE_PGM_RSRC2:TGID_Z_EN: 0
; COMPUTE_PGM_RSRC2:TIDIG_COMP_CNT: 0
	.section	.text._ZN9rocsparseL22gebsrmvn_mxn_16_kernelILj72ELj9ELj8EdEEvi20rocsparse_direction_NS_24const_host_device_scalarIT2_EEPKiS6_PKS3_iiS8_S4_PS3_21rocsparse_index_base_b,"axG",@progbits,_ZN9rocsparseL22gebsrmvn_mxn_16_kernelILj72ELj9ELj8EdEEvi20rocsparse_direction_NS_24const_host_device_scalarIT2_EEPKiS6_PKS3_iiS8_S4_PS3_21rocsparse_index_base_b,comdat
	.globl	_ZN9rocsparseL22gebsrmvn_mxn_16_kernelILj72ELj9ELj8EdEEvi20rocsparse_direction_NS_24const_host_device_scalarIT2_EEPKiS6_PKS3_iiS8_S4_PS3_21rocsparse_index_base_b ; -- Begin function _ZN9rocsparseL22gebsrmvn_mxn_16_kernelILj72ELj9ELj8EdEEvi20rocsparse_direction_NS_24const_host_device_scalarIT2_EEPKiS6_PKS3_iiS8_S4_PS3_21rocsparse_index_base_b
	.p2align	8
	.type	_ZN9rocsparseL22gebsrmvn_mxn_16_kernelILj72ELj9ELj8EdEEvi20rocsparse_direction_NS_24const_host_device_scalarIT2_EEPKiS6_PKS3_iiS8_S4_PS3_21rocsparse_index_base_b,@function
_ZN9rocsparseL22gebsrmvn_mxn_16_kernelILj72ELj9ELj8EdEEvi20rocsparse_direction_NS_24const_host_device_scalarIT2_EEPKiS6_PKS3_iiS8_S4_PS3_21rocsparse_index_base_b: ; @_ZN9rocsparseL22gebsrmvn_mxn_16_kernelILj72ELj9ELj8EdEEvi20rocsparse_direction_NS_24const_host_device_scalarIT2_EEPKiS6_PKS3_iiS8_S4_PS3_21rocsparse_index_base_b
; %bb.0:
	s_load_dwordx2 s[10:11], s[4:5], 0x48
	s_load_dwordx2 s[8:9], s[4:5], 0x8
	;; [unrolled: 1-line block ×3, first 2 shown]
	s_waitcnt lgkmcnt(0)
	s_bitcmp1_b32 s11, 0
	s_cselect_b64 s[12:13], -1, 0
	v_mov_b32_e32 v3, s8
	s_xor_b64 s[2:3], s[12:13], -1
	s_and_b64 vcc, exec, s[12:13]
	v_mov_b32_e32 v4, s9
	s_cbranch_vccnz .LBB41_2
; %bb.1:
	v_mov_b32_e32 v1, s8
	v_mov_b32_e32 v2, s9
	flat_load_dwordx2 v[3:4], v[1:2]
.LBB41_2:
	v_mov_b32_e32 v2, s1
	s_andn2_b64 vcc, exec, s[2:3]
	v_mov_b32_e32 v1, s0
	s_cbranch_vccnz .LBB41_4
; %bb.3:
	v_mov_b32_e32 v2, s1
	v_mov_b32_e32 v1, s0
	flat_load_dwordx2 v[1:2], v[1:2]
.LBB41_4:
	s_waitcnt vmcnt(0) lgkmcnt(0)
	v_cmp_neq_f64_e32 vcc, 0, v[3:4]
	v_cmp_neq_f64_e64 s[0:1], 1.0, v[1:2]
	s_or_b64 s[0:1], vcc, s[0:1]
	s_and_saveexec_b64 s[2:3], s[0:1]
	s_cbranch_execz .LBB41_37
; %bb.5:
	s_load_dword s2, s[4:5], 0x4
	s_load_dwordx2 s[0:1], s[4:5], 0x10
	v_and_b32_e32 v11, 7, v0
	v_mov_b32_e32 v12, v11
	s_waitcnt lgkmcnt(0)
	s_cmp_lg_u32 s2, 1
	s_cselect_b64 s[12:13], -1, 0
	s_and_b64 vcc, exec, s[12:13]
	s_cbranch_vccnz .LBB41_7
; %bb.6:
	v_mul_u32_u24_e32 v5, 0x1c72, v0
	v_bfe_u32 v12, v5, 16, 3
.LBB41_7:
	s_ashr_i32 s7, s6, 31
	s_lshl_b64 s[2:3], s[6:7], 2
	s_add_u32 s0, s0, s2
	s_addc_u32 s1, s1, s3
	s_load_dwordx2 s[16:17], s[0:1], 0x0
	s_load_dwordx2 s[8:9], s[4:5], 0x40
	v_mov_b32_e32 v5, 0
	v_mov_b32_e32 v6, 0
	s_waitcnt lgkmcnt(0)
	s_cmp_ge_i32 s16, s17
	s_cbranch_scc1 .LBB41_12
; %bb.8:
	s_load_dwordx4 s[0:3], s[4:5], 0x18
	s_load_dwordx2 s[14:15], s[4:5], 0x30
	s_mul_i32 s4, s16, 0x48
	v_add_u32_e32 v5, s4, v0
	s_mul_i32 s4, s10, 0x48
	v_subrev_u32_e32 v7, s4, v5
	v_mov_b32_e32 v5, 0
	s_sub_i32 s7, s17, s10
	s_sub_i32 s11, s16, s10
	v_mul_u32_u24_e32 v13, 0x38f, v0
	v_mov_b32_e32 v6, 0
	v_mov_b32_e32 v8, 0
	s_branch .LBB41_10
.LBB41_9:                               ;   in Loop: Header=BB41_10 Depth=1
	s_or_b64 exec, exec, s[4:5]
	s_add_i32 s11, s11, 1
	s_cmp_ge_i32 s11, s7
	v_add_u32_e32 v7, 0x48, v7
	s_cbranch_scc1 .LBB41_12
.LBB41_10:                              ; =>This Inner Loop Header: Depth=1
	v_add_u32_sdwa v9, v13, s11 dst_sel:DWORD dst_unused:UNUSED_PAD src0_sel:WORD_1 src1_sel:DWORD
	v_cmp_gt_i32_e32 vcc, s7, v9
	s_and_saveexec_b64 s[4:5], vcc
	s_cbranch_execz .LBB41_9
; %bb.11:                               ;   in Loop: Header=BB41_10 Depth=1
	v_ashrrev_i32_e32 v10, 31, v9
	v_lshlrev_b64 v[9:10], 2, v[9:10]
	s_waitcnt lgkmcnt(0)
	v_mov_b32_e32 v14, s1
	v_add_co_u32_e32 v9, vcc, s0, v9
	v_addc_co_u32_e32 v10, vcc, v14, v10, vcc
	global_load_dword v14, v[9:10], off
	v_lshlrev_b64 v[9:10], 3, v[7:8]
	v_mov_b32_e32 v15, s3
	v_add_co_u32_e32 v9, vcc, s2, v9
	v_addc_co_u32_e32 v10, vcc, v15, v10, vcc
	v_mov_b32_e32 v16, s15
	global_load_dwordx2 v[9:10], v[9:10], off
	s_waitcnt vmcnt(1)
	v_subrev_u32_e32 v14, s10, v14
	v_lshl_or_b32 v14, v14, 3, v12
	v_ashrrev_i32_e32 v15, 31, v14
	v_lshlrev_b64 v[14:15], 3, v[14:15]
	v_add_co_u32_e32 v14, vcc, s14, v14
	v_addc_co_u32_e32 v15, vcc, v16, v15, vcc
	global_load_dwordx2 v[14:15], v[14:15], off
	s_waitcnt vmcnt(0)
	v_fma_f64 v[5:6], v[9:10], v[14:15], v[5:6]
	s_branch .LBB41_9
.LBB41_12:
	v_lshlrev_b32_e32 v9, 3, v0
	s_and_b64 vcc, exec, s[12:13]
	ds_write_b64 v9, v[5:6]
	s_waitcnt lgkmcnt(0)
	s_barrier
	s_cbranch_vccz .LBB41_22
; %bb.13:
	v_cmp_gt_u32_e32 vcc, 4, v11
	s_and_saveexec_b64 s[0:1], vcc
	s_cbranch_execz .LBB41_15
; %bb.14:
	ds_read2_b64 v[12:15], v9 offset1:4
	s_waitcnt lgkmcnt(0)
	v_add_f64 v[7:8], v[14:15], v[12:13]
	ds_write_b64 v9, v[7:8]
.LBB41_15:
	s_or_b64 exec, exec, s[0:1]
	v_cmp_gt_u32_e32 vcc, 2, v11
	s_waitcnt lgkmcnt(0)
	s_barrier
	s_and_saveexec_b64 s[0:1], vcc
	s_cbranch_execz .LBB41_17
; %bb.16:
	ds_read2_b64 v[12:15], v9 offset1:2
	s_waitcnt lgkmcnt(0)
	v_add_f64 v[7:8], v[14:15], v[12:13]
	ds_write_b64 v9, v[7:8]
.LBB41_17:
	s_or_b64 exec, exec, s[0:1]
	v_cmp_eq_u32_e32 vcc, 0, v11
	s_waitcnt lgkmcnt(0)
	s_barrier
	s_and_saveexec_b64 s[0:1], vcc
	s_cbranch_execz .LBB41_19
; %bb.18:
	ds_read2_b64 v[10:13], v9 offset1:1
	s_waitcnt lgkmcnt(0)
	v_add_f64 v[7:8], v[12:13], v[10:11]
	ds_write_b64 v9, v[7:8]
.LBB41_19:
	s_or_b64 exec, exec, s[0:1]
	v_mov_b32_e32 v8, v6
	v_cmp_gt_u32_e32 vcc, 9, v0
	v_mov_b32_e32 v7, v5
	s_waitcnt lgkmcnt(0)
	s_barrier
	s_and_saveexec_b64 s[0:1], vcc
; %bb.20:
	v_mad_u32_u24 v7, v0, 56, v9
	ds_read_b64 v[7:8], v7
; %bb.21:
	s_or_b64 exec, exec, s[0:1]
	s_branch .LBB41_32
.LBB41_22:
                                        ; implicit-def: $vgpr7_vgpr8
	s_cbranch_execz .LBB41_32
; %bb.23:
	v_cmp_gt_u32_e32 vcc, 36, v0
	s_and_saveexec_b64 s[0:1], vcc
	s_cbranch_execz .LBB41_25
; %bb.24:
	ds_read2_b64 v[10:13], v9 offset1:36
	s_waitcnt lgkmcnt(0)
	v_add_f64 v[7:8], v[12:13], v[10:11]
	ds_write_b64 v9, v[7:8]
.LBB41_25:
	s_or_b64 exec, exec, s[0:1]
	v_cmp_gt_u32_e32 vcc, 18, v0
	s_waitcnt lgkmcnt(0)
	s_barrier
	s_and_saveexec_b64 s[0:1], vcc
	s_cbranch_execz .LBB41_27
; %bb.26:
	ds_read2_b64 v[10:13], v9 offset1:18
	s_waitcnt lgkmcnt(0)
	v_add_f64 v[7:8], v[12:13], v[10:11]
	ds_write_b64 v9, v[7:8]
.LBB41_27:
	s_or_b64 exec, exec, s[0:1]
	v_cmp_lt_u32_e32 vcc, 8, v0
	s_waitcnt lgkmcnt(0)
	s_and_saveexec_b64 s[0:1], vcc
	s_xor_b64 s[0:1], exec, s[0:1]
; %bb.28:
                                        ; implicit-def: $vgpr9
; %bb.29:
	s_andn2_saveexec_b64 s[0:1], s[0:1]
	s_cbranch_execz .LBB41_31
; %bb.30:
	ds_read2_b64 v[5:8], v9 offset1:9
	s_waitcnt lgkmcnt(0)
	v_add_f64 v[5:6], v[7:8], v[5:6]
	ds_write_b64 v9, v[5:6]
	s_waitcnt lgkmcnt(0)
	ds_read_b64 v[5:6], v9
.LBB41_31:
	s_or_b64 exec, exec, s[0:1]
	s_waitcnt lgkmcnt(0)
	v_mov_b32_e32 v8, v6
	v_mov_b32_e32 v7, v5
.LBB41_32:
	v_cmp_gt_u32_e32 vcc, 9, v0
	s_and_b64 exec, exec, vcc
	s_cbranch_execz .LBB41_37
; %bb.33:
	v_cmp_eq_f64_e32 vcc, 0, v[1:2]
	s_waitcnt lgkmcnt(0)
	v_mul_f64 v[3:4], v[3:4], v[7:8]
	s_and_saveexec_b64 s[0:1], vcc
	s_xor_b64 s[0:1], exec, s[0:1]
	s_cbranch_execz .LBB41_35
; %bb.34:
	v_mad_u64_u32 v[0:1], s[2:3], s6, 9, v[0:1]
	v_mov_b32_e32 v1, 0
	v_mov_b32_e32 v2, s9
	v_lshlrev_b64 v[0:1], 3, v[0:1]
	v_add_co_u32_e32 v0, vcc, s8, v0
	v_addc_co_u32_e32 v1, vcc, v2, v1, vcc
	global_store_dwordx2 v[0:1], v[3:4], off
                                        ; implicit-def: $vgpr0
                                        ; implicit-def: $vgpr1_vgpr2
                                        ; implicit-def: $vgpr3_vgpr4
.LBB41_35:
	s_andn2_saveexec_b64 s[0:1], s[0:1]
	s_cbranch_execz .LBB41_37
; %bb.36:
	v_mad_u64_u32 v[5:6], s[0:1], s6, 9, v[0:1]
	v_mov_b32_e32 v6, 0
	v_mov_b32_e32 v0, s9
	v_lshlrev_b64 v[5:6], 3, v[5:6]
	v_add_co_u32_e32 v5, vcc, s8, v5
	v_addc_co_u32_e32 v6, vcc, v0, v6, vcc
	global_load_dwordx2 v[7:8], v[5:6], off
	s_waitcnt vmcnt(0)
	v_fma_f64 v[0:1], v[1:2], v[7:8], v[3:4]
	global_store_dwordx2 v[5:6], v[0:1], off
.LBB41_37:
	s_endpgm
	.section	.rodata,"a",@progbits
	.p2align	6, 0x0
	.amdhsa_kernel _ZN9rocsparseL22gebsrmvn_mxn_16_kernelILj72ELj9ELj8EdEEvi20rocsparse_direction_NS_24const_host_device_scalarIT2_EEPKiS6_PKS3_iiS8_S4_PS3_21rocsparse_index_base_b
		.amdhsa_group_segment_fixed_size 576
		.amdhsa_private_segment_fixed_size 0
		.amdhsa_kernarg_size 80
		.amdhsa_user_sgpr_count 6
		.amdhsa_user_sgpr_private_segment_buffer 1
		.amdhsa_user_sgpr_dispatch_ptr 0
		.amdhsa_user_sgpr_queue_ptr 0
		.amdhsa_user_sgpr_kernarg_segment_ptr 1
		.amdhsa_user_sgpr_dispatch_id 0
		.amdhsa_user_sgpr_flat_scratch_init 0
		.amdhsa_user_sgpr_private_segment_size 0
		.amdhsa_uses_dynamic_stack 0
		.amdhsa_system_sgpr_private_segment_wavefront_offset 0
		.amdhsa_system_sgpr_workgroup_id_x 1
		.amdhsa_system_sgpr_workgroup_id_y 0
		.amdhsa_system_sgpr_workgroup_id_z 0
		.amdhsa_system_sgpr_workgroup_info 0
		.amdhsa_system_vgpr_workitem_id 0
		.amdhsa_next_free_vgpr 17
		.amdhsa_next_free_sgpr 18
		.amdhsa_reserve_vcc 1
		.amdhsa_reserve_flat_scratch 0
		.amdhsa_float_round_mode_32 0
		.amdhsa_float_round_mode_16_64 0
		.amdhsa_float_denorm_mode_32 3
		.amdhsa_float_denorm_mode_16_64 3
		.amdhsa_dx10_clamp 1
		.amdhsa_ieee_mode 1
		.amdhsa_fp16_overflow 0
		.amdhsa_exception_fp_ieee_invalid_op 0
		.amdhsa_exception_fp_denorm_src 0
		.amdhsa_exception_fp_ieee_div_zero 0
		.amdhsa_exception_fp_ieee_overflow 0
		.amdhsa_exception_fp_ieee_underflow 0
		.amdhsa_exception_fp_ieee_inexact 0
		.amdhsa_exception_int_div_zero 0
	.end_amdhsa_kernel
	.section	.text._ZN9rocsparseL22gebsrmvn_mxn_16_kernelILj72ELj9ELj8EdEEvi20rocsparse_direction_NS_24const_host_device_scalarIT2_EEPKiS6_PKS3_iiS8_S4_PS3_21rocsparse_index_base_b,"axG",@progbits,_ZN9rocsparseL22gebsrmvn_mxn_16_kernelILj72ELj9ELj8EdEEvi20rocsparse_direction_NS_24const_host_device_scalarIT2_EEPKiS6_PKS3_iiS8_S4_PS3_21rocsparse_index_base_b,comdat
.Lfunc_end41:
	.size	_ZN9rocsparseL22gebsrmvn_mxn_16_kernelILj72ELj9ELj8EdEEvi20rocsparse_direction_NS_24const_host_device_scalarIT2_EEPKiS6_PKS3_iiS8_S4_PS3_21rocsparse_index_base_b, .Lfunc_end41-_ZN9rocsparseL22gebsrmvn_mxn_16_kernelILj72ELj9ELj8EdEEvi20rocsparse_direction_NS_24const_host_device_scalarIT2_EEPKiS6_PKS3_iiS8_S4_PS3_21rocsparse_index_base_b
                                        ; -- End function
	.set _ZN9rocsparseL22gebsrmvn_mxn_16_kernelILj72ELj9ELj8EdEEvi20rocsparse_direction_NS_24const_host_device_scalarIT2_EEPKiS6_PKS3_iiS8_S4_PS3_21rocsparse_index_base_b.num_vgpr, 17
	.set _ZN9rocsparseL22gebsrmvn_mxn_16_kernelILj72ELj9ELj8EdEEvi20rocsparse_direction_NS_24const_host_device_scalarIT2_EEPKiS6_PKS3_iiS8_S4_PS3_21rocsparse_index_base_b.num_agpr, 0
	.set _ZN9rocsparseL22gebsrmvn_mxn_16_kernelILj72ELj9ELj8EdEEvi20rocsparse_direction_NS_24const_host_device_scalarIT2_EEPKiS6_PKS3_iiS8_S4_PS3_21rocsparse_index_base_b.numbered_sgpr, 18
	.set _ZN9rocsparseL22gebsrmvn_mxn_16_kernelILj72ELj9ELj8EdEEvi20rocsparse_direction_NS_24const_host_device_scalarIT2_EEPKiS6_PKS3_iiS8_S4_PS3_21rocsparse_index_base_b.num_named_barrier, 0
	.set _ZN9rocsparseL22gebsrmvn_mxn_16_kernelILj72ELj9ELj8EdEEvi20rocsparse_direction_NS_24const_host_device_scalarIT2_EEPKiS6_PKS3_iiS8_S4_PS3_21rocsparse_index_base_b.private_seg_size, 0
	.set _ZN9rocsparseL22gebsrmvn_mxn_16_kernelILj72ELj9ELj8EdEEvi20rocsparse_direction_NS_24const_host_device_scalarIT2_EEPKiS6_PKS3_iiS8_S4_PS3_21rocsparse_index_base_b.uses_vcc, 1
	.set _ZN9rocsparseL22gebsrmvn_mxn_16_kernelILj72ELj9ELj8EdEEvi20rocsparse_direction_NS_24const_host_device_scalarIT2_EEPKiS6_PKS3_iiS8_S4_PS3_21rocsparse_index_base_b.uses_flat_scratch, 0
	.set _ZN9rocsparseL22gebsrmvn_mxn_16_kernelILj72ELj9ELj8EdEEvi20rocsparse_direction_NS_24const_host_device_scalarIT2_EEPKiS6_PKS3_iiS8_S4_PS3_21rocsparse_index_base_b.has_dyn_sized_stack, 0
	.set _ZN9rocsparseL22gebsrmvn_mxn_16_kernelILj72ELj9ELj8EdEEvi20rocsparse_direction_NS_24const_host_device_scalarIT2_EEPKiS6_PKS3_iiS8_S4_PS3_21rocsparse_index_base_b.has_recursion, 0
	.set _ZN9rocsparseL22gebsrmvn_mxn_16_kernelILj72ELj9ELj8EdEEvi20rocsparse_direction_NS_24const_host_device_scalarIT2_EEPKiS6_PKS3_iiS8_S4_PS3_21rocsparse_index_base_b.has_indirect_call, 0
	.section	.AMDGPU.csdata,"",@progbits
; Kernel info:
; codeLenInByte = 1044
; TotalNumSgprs: 22
; NumVgprs: 17
; ScratchSize: 0
; MemoryBound: 0
; FloatMode: 240
; IeeeMode: 1
; LDSByteSize: 576 bytes/workgroup (compile time only)
; SGPRBlocks: 2
; VGPRBlocks: 4
; NumSGPRsForWavesPerEU: 22
; NumVGPRsForWavesPerEU: 17
; Occupancy: 10
; WaveLimiterHint : 1
; COMPUTE_PGM_RSRC2:SCRATCH_EN: 0
; COMPUTE_PGM_RSRC2:USER_SGPR: 6
; COMPUTE_PGM_RSRC2:TRAP_HANDLER: 0
; COMPUTE_PGM_RSRC2:TGID_X_EN: 1
; COMPUTE_PGM_RSRC2:TGID_Y_EN: 0
; COMPUTE_PGM_RSRC2:TGID_Z_EN: 0
; COMPUTE_PGM_RSRC2:TIDIG_COMP_CNT: 0
	.section	.text._ZN9rocsparseL23gebsrmvn_general_kernelILj256ELj16EdEEvi20rocsparse_direction_NS_24const_host_device_scalarIT1_EEPKiS6_PKS3_iiS8_S4_PS3_21rocsparse_index_base_b,"axG",@progbits,_ZN9rocsparseL23gebsrmvn_general_kernelILj256ELj16EdEEvi20rocsparse_direction_NS_24const_host_device_scalarIT1_EEPKiS6_PKS3_iiS8_S4_PS3_21rocsparse_index_base_b,comdat
	.globl	_ZN9rocsparseL23gebsrmvn_general_kernelILj256ELj16EdEEvi20rocsparse_direction_NS_24const_host_device_scalarIT1_EEPKiS6_PKS3_iiS8_S4_PS3_21rocsparse_index_base_b ; -- Begin function _ZN9rocsparseL23gebsrmvn_general_kernelILj256ELj16EdEEvi20rocsparse_direction_NS_24const_host_device_scalarIT1_EEPKiS6_PKS3_iiS8_S4_PS3_21rocsparse_index_base_b
	.p2align	8
	.type	_ZN9rocsparseL23gebsrmvn_general_kernelILj256ELj16EdEEvi20rocsparse_direction_NS_24const_host_device_scalarIT1_EEPKiS6_PKS3_iiS8_S4_PS3_21rocsparse_index_base_b,@function
_ZN9rocsparseL23gebsrmvn_general_kernelILj256ELj16EdEEvi20rocsparse_direction_NS_24const_host_device_scalarIT1_EEPKiS6_PKS3_iiS8_S4_PS3_21rocsparse_index_base_b: ; @_ZN9rocsparseL23gebsrmvn_general_kernelILj256ELj16EdEEvi20rocsparse_direction_NS_24const_host_device_scalarIT1_EEPKiS6_PKS3_iiS8_S4_PS3_21rocsparse_index_base_b
; %bb.0:
	s_load_dwordx2 s[12:13], s[4:5], 0x48
	s_load_dwordx2 s[8:9], s[4:5], 0x8
	;; [unrolled: 1-line block ×3, first 2 shown]
	s_waitcnt lgkmcnt(0)
	s_bitcmp1_b32 s13, 0
	s_cselect_b64 s[10:11], -1, 0
	v_mov_b32_e32 v1, s8
	s_xor_b64 s[2:3], s[10:11], -1
	s_and_b64 vcc, exec, s[10:11]
	v_mov_b32_e32 v2, s9
	s_cbranch_vccnz .LBB42_2
; %bb.1:
	v_mov_b32_e32 v1, s8
	v_mov_b32_e32 v2, s9
	flat_load_dwordx2 v[1:2], v[1:2]
.LBB42_2:
	v_mov_b32_e32 v4, s1
	s_andn2_b64 vcc, exec, s[2:3]
	v_mov_b32_e32 v3, s0
	s_cbranch_vccnz .LBB42_4
; %bb.3:
	v_mov_b32_e32 v4, s1
	v_mov_b32_e32 v3, s0
	flat_load_dwordx2 v[3:4], v[3:4]
.LBB42_4:
	s_waitcnt vmcnt(0) lgkmcnt(0)
	v_cmp_neq_f64_e32 vcc, 0, v[1:2]
	v_cmp_neq_f64_e64 s[0:1], 1.0, v[3:4]
	s_or_b64 s[0:1], vcc, s[0:1]
	s_and_saveexec_b64 s[2:3], s[0:1]
	s_cbranch_execz .LBB42_24
; %bb.5:
	s_load_dwordx2 s[14:15], s[4:5], 0x28
	v_lshrrev_b32_e32 v5, 4, v0
	s_waitcnt lgkmcnt(0)
	v_cmp_gt_i32_e32 vcc, s14, v5
	s_and_b64 exec, exec, vcc
	s_cbranch_execz .LBB42_24
; %bb.6:
	s_load_dwordx4 s[8:11], s[4:5], 0x10
	s_load_dword s20, s[4:5], 0x4
	s_ashr_i32 s7, s6, 31
	s_lshl_b64 s[0:1], s[6:7], 2
	s_mul_i32 s34, s14, s6
	s_waitcnt lgkmcnt(0)
	s_add_u32 s0, s8, s0
	s_addc_u32 s1, s9, s1
	s_load_dwordx2 s[2:3], s[0:1], 0x0
	s_load_dwordx2 s[8:9], s[4:5], 0x20
	s_load_dwordx2 s[16:17], s[4:5], 0x30
	s_load_dwordx2 s[18:19], s[4:5], 0x40
	v_cmp_eq_f64_e64 s[4:5], 0, v[3:4]
	s_waitcnt lgkmcnt(0)
	s_sub_i32 s13, s2, s12
	s_mul_i32 s6, s14, s13
	s_sub_i32 s33, s3, s12
	v_add_u32_e32 v6, s6, v5
	s_cmp_lt_i32 s2, s3
	v_mul_lo_u32 v10, s15, v6
	s_cselect_b64 s[24:25], -1, 0
	v_and_b32_e32 v0, 15, v0
	s_cmp_lg_u32 s20, 0
	v_cndmask_b32_e64 v6, 0, 1, s[24:25]
	v_cmp_gt_i32_e64 s[0:1], s15, v0
	s_cselect_b64 s[20:21], -1, 0
	v_cmp_eq_u32_e64 s[2:3], 15, v0
	s_mov_b64 s[22:23], 0
	s_lshl_b32 s35, s15, 4
	s_mul_i32 s36, s15, s14
	v_cmp_ne_u32_e64 s[6:7], 1, v6
	s_branch .LBB42_8
.LBB42_7:                               ;   in Loop: Header=BB42_8 Depth=1
	s_or_b64 exec, exec, s[24:25]
	v_add_u32_e32 v5, 16, v5
	v_cmp_le_i32_e32 vcc, s14, v5
	s_or_b64 s[22:23], vcc, s[22:23]
	v_add_u32_e32 v10, s35, v10
	s_andn2_b64 exec, exec, s[22:23]
	s_cbranch_execz .LBB42_24
.LBB42_8:                               ; =>This Loop Header: Depth=1
                                        ;     Child Loop BB42_12 Depth 2
                                        ;       Child Loop BB42_15 Depth 3
	v_mov_b32_e32 v6, 0
	v_mov_b32_e32 v7, 0
	s_and_b64 vcc, exec, s[6:7]
	s_cbranch_vccnz .LBB42_19
; %bb.9:                                ;   in Loop: Header=BB42_8 Depth=1
	v_mov_b32_e32 v6, 0
	v_mov_b32_e32 v7, 0
	;; [unrolled: 1-line block ×3, first 2 shown]
	s_mov_b32 s24, s13
	s_branch .LBB42_12
.LBB42_10:                              ;   in Loop: Header=BB42_12 Depth=2
	s_or_b64 exec, exec, s[28:29]
.LBB42_11:                              ;   in Loop: Header=BB42_12 Depth=2
	s_or_b64 exec, exec, s[26:27]
	s_add_i32 s24, s24, 1
	s_cmp_ge_i32 s24, s33
	v_add_u32_e32 v11, s36, v11
	s_cbranch_scc1 .LBB42_19
.LBB42_12:                              ;   Parent Loop BB42_8 Depth=1
                                        ; =>  This Loop Header: Depth=2
                                        ;       Child Loop BB42_15 Depth 3
	s_and_saveexec_b64 s[26:27], s[0:1]
	s_cbranch_execz .LBB42_11
; %bb.13:                               ;   in Loop: Header=BB42_12 Depth=2
	s_ashr_i32 s25, s24, 31
	s_lshl_b64 s[28:29], s[24:25], 2
	s_add_u32 s28, s10, s28
	s_addc_u32 s29, s11, s29
	s_load_dword s30, s[28:29], 0x0
	s_mul_i32 s25, s24, s15
	s_mov_b64 s[28:29], 0
	v_mov_b32_e32 v12, v0
	s_waitcnt lgkmcnt(0)
	s_sub_i32 s37, s30, s12
	s_mul_i32 s37, s37, s15
	s_branch .LBB42_15
.LBB42_14:                              ;   in Loop: Header=BB42_15 Depth=3
	v_ashrrev_i32_e32 v9, 31, v8
	v_lshlrev_b64 v[8:9], 3, v[8:9]
	v_mov_b32_e32 v13, s9
	v_add_co_u32_e32 v8, vcc, s8, v8
	v_addc_co_u32_e32 v9, vcc, v13, v9, vcc
	v_add_u32_e32 v13, s37, v12
	v_ashrrev_i32_e32 v14, 31, v13
	v_lshlrev_b64 v[13:14], 3, v[13:14]
	v_mov_b32_e32 v15, s17
	v_add_co_u32_e32 v13, vcc, s16, v13
	v_addc_co_u32_e32 v14, vcc, v15, v14, vcc
	global_load_dwordx2 v[8:9], v[8:9], off
	v_add_u32_e32 v12, 16, v12
	global_load_dwordx2 v[13:14], v[13:14], off
	v_cmp_le_i32_e32 vcc, s15, v12
	s_or_b64 s[28:29], vcc, s[28:29]
	s_waitcnt vmcnt(0)
	v_fma_f64 v[6:7], v[8:9], v[13:14], v[6:7]
	s_andn2_b64 exec, exec, s[28:29]
	s_cbranch_execz .LBB42_10
.LBB42_15:                              ;   Parent Loop BB42_8 Depth=1
                                        ;     Parent Loop BB42_12 Depth=2
                                        ; =>    This Inner Loop Header: Depth=3
	s_and_b64 vcc, exec, s[20:21]
	s_cbranch_vccz .LBB42_17
; %bb.16:                               ;   in Loop: Header=BB42_15 Depth=3
	v_add_u32_e32 v8, s25, v12
	v_mad_u64_u32 v[8:9], s[30:31], v8, s14, v[5:6]
	s_cbranch_execnz .LBB42_14
	s_branch .LBB42_18
.LBB42_17:                              ;   in Loop: Header=BB42_15 Depth=3
                                        ; implicit-def: $vgpr8
.LBB42_18:                              ;   in Loop: Header=BB42_15 Depth=3
	v_add_u32_e32 v8, v11, v12
	s_branch .LBB42_14
.LBB42_19:                              ;   in Loop: Header=BB42_8 Depth=1
	v_mov_b32_dpp v8, v6 row_shr:1 row_mask:0xf bank_mask:0xf
	v_mov_b32_dpp v9, v7 row_shr:1 row_mask:0xf bank_mask:0xf
	v_add_f64 v[6:7], v[6:7], v[8:9]
	s_nop 1
	v_mov_b32_dpp v8, v6 row_shr:2 row_mask:0xf bank_mask:0xf
	v_mov_b32_dpp v9, v7 row_shr:2 row_mask:0xf bank_mask:0xf
	v_add_f64 v[6:7], v[6:7], v[8:9]
	s_nop 1
	;; [unrolled: 4-line block ×3, first 2 shown]
	v_mov_b32_dpp v8, v6 row_shr:8 row_mask:0xf bank_mask:0xc
	v_mov_b32_dpp v9, v7 row_shr:8 row_mask:0xf bank_mask:0xc
	s_and_saveexec_b64 s[24:25], s[2:3]
	s_cbranch_execz .LBB42_7
; %bb.20:                               ;   in Loop: Header=BB42_8 Depth=1
	v_add_f64 v[6:7], v[6:7], v[8:9]
	v_add_u32_e32 v8, s34, v5
	v_ashrrev_i32_e32 v9, 31, v8
	v_mul_f64 v[6:7], v[1:2], v[6:7]
	s_and_saveexec_b64 s[26:27], s[4:5]
	s_xor_b64 s[26:27], exec, s[26:27]
	s_cbranch_execz .LBB42_22
; %bb.21:                               ;   in Loop: Header=BB42_8 Depth=1
	v_lshlrev_b64 v[8:9], 3, v[8:9]
	v_mov_b32_e32 v11, s19
	v_add_co_u32_e32 v8, vcc, s18, v8
	v_addc_co_u32_e32 v9, vcc, v11, v9, vcc
	global_store_dwordx2 v[8:9], v[6:7], off
                                        ; implicit-def: $vgpr8
                                        ; implicit-def: $vgpr6_vgpr7
.LBB42_22:                              ;   in Loop: Header=BB42_8 Depth=1
	s_andn2_saveexec_b64 s[26:27], s[26:27]
	s_cbranch_execz .LBB42_7
; %bb.23:                               ;   in Loop: Header=BB42_8 Depth=1
	v_lshlrev_b64 v[8:9], 3, v[8:9]
	v_mov_b32_e32 v11, s19
	v_add_co_u32_e32 v8, vcc, s18, v8
	v_addc_co_u32_e32 v9, vcc, v11, v9, vcc
	global_load_dwordx2 v[11:12], v[8:9], off
	s_waitcnt vmcnt(0)
	v_fma_f64 v[6:7], v[3:4], v[11:12], v[6:7]
	global_store_dwordx2 v[8:9], v[6:7], off
	s_branch .LBB42_7
.LBB42_24:
	s_endpgm
	.section	.rodata,"a",@progbits
	.p2align	6, 0x0
	.amdhsa_kernel _ZN9rocsparseL23gebsrmvn_general_kernelILj256ELj16EdEEvi20rocsparse_direction_NS_24const_host_device_scalarIT1_EEPKiS6_PKS3_iiS8_S4_PS3_21rocsparse_index_base_b
		.amdhsa_group_segment_fixed_size 0
		.amdhsa_private_segment_fixed_size 0
		.amdhsa_kernarg_size 80
		.amdhsa_user_sgpr_count 6
		.amdhsa_user_sgpr_private_segment_buffer 1
		.amdhsa_user_sgpr_dispatch_ptr 0
		.amdhsa_user_sgpr_queue_ptr 0
		.amdhsa_user_sgpr_kernarg_segment_ptr 1
		.amdhsa_user_sgpr_dispatch_id 0
		.amdhsa_user_sgpr_flat_scratch_init 0
		.amdhsa_user_sgpr_private_segment_size 0
		.amdhsa_uses_dynamic_stack 0
		.amdhsa_system_sgpr_private_segment_wavefront_offset 0
		.amdhsa_system_sgpr_workgroup_id_x 1
		.amdhsa_system_sgpr_workgroup_id_y 0
		.amdhsa_system_sgpr_workgroup_id_z 0
		.amdhsa_system_sgpr_workgroup_info 0
		.amdhsa_system_vgpr_workitem_id 0
		.amdhsa_next_free_vgpr 16
		.amdhsa_next_free_sgpr 38
		.amdhsa_reserve_vcc 1
		.amdhsa_reserve_flat_scratch 0
		.amdhsa_float_round_mode_32 0
		.amdhsa_float_round_mode_16_64 0
		.amdhsa_float_denorm_mode_32 3
		.amdhsa_float_denorm_mode_16_64 3
		.amdhsa_dx10_clamp 1
		.amdhsa_ieee_mode 1
		.amdhsa_fp16_overflow 0
		.amdhsa_exception_fp_ieee_invalid_op 0
		.amdhsa_exception_fp_denorm_src 0
		.amdhsa_exception_fp_ieee_div_zero 0
		.amdhsa_exception_fp_ieee_overflow 0
		.amdhsa_exception_fp_ieee_underflow 0
		.amdhsa_exception_fp_ieee_inexact 0
		.amdhsa_exception_int_div_zero 0
	.end_amdhsa_kernel
	.section	.text._ZN9rocsparseL23gebsrmvn_general_kernelILj256ELj16EdEEvi20rocsparse_direction_NS_24const_host_device_scalarIT1_EEPKiS6_PKS3_iiS8_S4_PS3_21rocsparse_index_base_b,"axG",@progbits,_ZN9rocsparseL23gebsrmvn_general_kernelILj256ELj16EdEEvi20rocsparse_direction_NS_24const_host_device_scalarIT1_EEPKiS6_PKS3_iiS8_S4_PS3_21rocsparse_index_base_b,comdat
.Lfunc_end42:
	.size	_ZN9rocsparseL23gebsrmvn_general_kernelILj256ELj16EdEEvi20rocsparse_direction_NS_24const_host_device_scalarIT1_EEPKiS6_PKS3_iiS8_S4_PS3_21rocsparse_index_base_b, .Lfunc_end42-_ZN9rocsparseL23gebsrmvn_general_kernelILj256ELj16EdEEvi20rocsparse_direction_NS_24const_host_device_scalarIT1_EEPKiS6_PKS3_iiS8_S4_PS3_21rocsparse_index_base_b
                                        ; -- End function
	.set _ZN9rocsparseL23gebsrmvn_general_kernelILj256ELj16EdEEvi20rocsparse_direction_NS_24const_host_device_scalarIT1_EEPKiS6_PKS3_iiS8_S4_PS3_21rocsparse_index_base_b.num_vgpr, 16
	.set _ZN9rocsparseL23gebsrmvn_general_kernelILj256ELj16EdEEvi20rocsparse_direction_NS_24const_host_device_scalarIT1_EEPKiS6_PKS3_iiS8_S4_PS3_21rocsparse_index_base_b.num_agpr, 0
	.set _ZN9rocsparseL23gebsrmvn_general_kernelILj256ELj16EdEEvi20rocsparse_direction_NS_24const_host_device_scalarIT1_EEPKiS6_PKS3_iiS8_S4_PS3_21rocsparse_index_base_b.numbered_sgpr, 38
	.set _ZN9rocsparseL23gebsrmvn_general_kernelILj256ELj16EdEEvi20rocsparse_direction_NS_24const_host_device_scalarIT1_EEPKiS6_PKS3_iiS8_S4_PS3_21rocsparse_index_base_b.num_named_barrier, 0
	.set _ZN9rocsparseL23gebsrmvn_general_kernelILj256ELj16EdEEvi20rocsparse_direction_NS_24const_host_device_scalarIT1_EEPKiS6_PKS3_iiS8_S4_PS3_21rocsparse_index_base_b.private_seg_size, 0
	.set _ZN9rocsparseL23gebsrmvn_general_kernelILj256ELj16EdEEvi20rocsparse_direction_NS_24const_host_device_scalarIT1_EEPKiS6_PKS3_iiS8_S4_PS3_21rocsparse_index_base_b.uses_vcc, 1
	.set _ZN9rocsparseL23gebsrmvn_general_kernelILj256ELj16EdEEvi20rocsparse_direction_NS_24const_host_device_scalarIT1_EEPKiS6_PKS3_iiS8_S4_PS3_21rocsparse_index_base_b.uses_flat_scratch, 0
	.set _ZN9rocsparseL23gebsrmvn_general_kernelILj256ELj16EdEEvi20rocsparse_direction_NS_24const_host_device_scalarIT1_EEPKiS6_PKS3_iiS8_S4_PS3_21rocsparse_index_base_b.has_dyn_sized_stack, 0
	.set _ZN9rocsparseL23gebsrmvn_general_kernelILj256ELj16EdEEvi20rocsparse_direction_NS_24const_host_device_scalarIT1_EEPKiS6_PKS3_iiS8_S4_PS3_21rocsparse_index_base_b.has_recursion, 0
	.set _ZN9rocsparseL23gebsrmvn_general_kernelILj256ELj16EdEEvi20rocsparse_direction_NS_24const_host_device_scalarIT1_EEPKiS6_PKS3_iiS8_S4_PS3_21rocsparse_index_base_b.has_indirect_call, 0
	.section	.AMDGPU.csdata,"",@progbits
; Kernel info:
; codeLenInByte = 856
; TotalNumSgprs: 42
; NumVgprs: 16
; ScratchSize: 0
; MemoryBound: 0
; FloatMode: 240
; IeeeMode: 1
; LDSByteSize: 0 bytes/workgroup (compile time only)
; SGPRBlocks: 5
; VGPRBlocks: 3
; NumSGPRsForWavesPerEU: 42
; NumVGPRsForWavesPerEU: 16
; Occupancy: 10
; WaveLimiterHint : 1
; COMPUTE_PGM_RSRC2:SCRATCH_EN: 0
; COMPUTE_PGM_RSRC2:USER_SGPR: 6
; COMPUTE_PGM_RSRC2:TRAP_HANDLER: 0
; COMPUTE_PGM_RSRC2:TGID_X_EN: 1
; COMPUTE_PGM_RSRC2:TGID_Y_EN: 0
; COMPUTE_PGM_RSRC2:TGID_Z_EN: 0
; COMPUTE_PGM_RSRC2:TIDIG_COMP_CNT: 0
	.section	.text._ZN9rocsparseL23gebsrmvn_general_kernelILj512ELj32EdEEvi20rocsparse_direction_NS_24const_host_device_scalarIT1_EEPKiS6_PKS3_iiS8_S4_PS3_21rocsparse_index_base_b,"axG",@progbits,_ZN9rocsparseL23gebsrmvn_general_kernelILj512ELj32EdEEvi20rocsparse_direction_NS_24const_host_device_scalarIT1_EEPKiS6_PKS3_iiS8_S4_PS3_21rocsparse_index_base_b,comdat
	.globl	_ZN9rocsparseL23gebsrmvn_general_kernelILj512ELj32EdEEvi20rocsparse_direction_NS_24const_host_device_scalarIT1_EEPKiS6_PKS3_iiS8_S4_PS3_21rocsparse_index_base_b ; -- Begin function _ZN9rocsparseL23gebsrmvn_general_kernelILj512ELj32EdEEvi20rocsparse_direction_NS_24const_host_device_scalarIT1_EEPKiS6_PKS3_iiS8_S4_PS3_21rocsparse_index_base_b
	.p2align	8
	.type	_ZN9rocsparseL23gebsrmvn_general_kernelILj512ELj32EdEEvi20rocsparse_direction_NS_24const_host_device_scalarIT1_EEPKiS6_PKS3_iiS8_S4_PS3_21rocsparse_index_base_b,@function
_ZN9rocsparseL23gebsrmvn_general_kernelILj512ELj32EdEEvi20rocsparse_direction_NS_24const_host_device_scalarIT1_EEPKiS6_PKS3_iiS8_S4_PS3_21rocsparse_index_base_b: ; @_ZN9rocsparseL23gebsrmvn_general_kernelILj512ELj32EdEEvi20rocsparse_direction_NS_24const_host_device_scalarIT1_EEPKiS6_PKS3_iiS8_S4_PS3_21rocsparse_index_base_b
; %bb.0:
	s_load_dwordx2 s[12:13], s[4:5], 0x48
	s_load_dwordx2 s[8:9], s[4:5], 0x8
	;; [unrolled: 1-line block ×3, first 2 shown]
	s_waitcnt lgkmcnt(0)
	s_bitcmp1_b32 s13, 0
	s_cselect_b64 s[10:11], -1, 0
	v_mov_b32_e32 v1, s8
	s_xor_b64 s[2:3], s[10:11], -1
	s_and_b64 vcc, exec, s[10:11]
	v_mov_b32_e32 v2, s9
	s_cbranch_vccnz .LBB43_2
; %bb.1:
	v_mov_b32_e32 v1, s8
	v_mov_b32_e32 v2, s9
	flat_load_dwordx2 v[1:2], v[1:2]
.LBB43_2:
	v_mov_b32_e32 v4, s1
	s_andn2_b64 vcc, exec, s[2:3]
	v_mov_b32_e32 v3, s0
	s_cbranch_vccnz .LBB43_4
; %bb.3:
	v_mov_b32_e32 v4, s1
	v_mov_b32_e32 v3, s0
	flat_load_dwordx2 v[3:4], v[3:4]
.LBB43_4:
	s_waitcnt vmcnt(0) lgkmcnt(0)
	v_cmp_neq_f64_e32 vcc, 0, v[1:2]
	v_cmp_neq_f64_e64 s[0:1], 1.0, v[3:4]
	s_or_b64 s[0:1], vcc, s[0:1]
	s_and_saveexec_b64 s[2:3], s[0:1]
	s_cbranch_execz .LBB43_24
; %bb.5:
	s_load_dwordx2 s[14:15], s[4:5], 0x28
	v_lshrrev_b32_e32 v5, 5, v0
	s_waitcnt lgkmcnt(0)
	v_cmp_gt_i32_e32 vcc, s14, v5
	s_and_b64 exec, exec, vcc
	s_cbranch_execz .LBB43_24
; %bb.6:
	s_load_dwordx4 s[8:11], s[4:5], 0x10
	s_load_dword s20, s[4:5], 0x4
	s_ashr_i32 s7, s6, 31
	s_lshl_b64 s[0:1], s[6:7], 2
	s_mul_i32 s34, s14, s6
	s_waitcnt lgkmcnt(0)
	s_add_u32 s0, s8, s0
	s_addc_u32 s1, s9, s1
	s_load_dwordx2 s[2:3], s[0:1], 0x0
	s_load_dwordx2 s[8:9], s[4:5], 0x20
	;; [unrolled: 1-line block ×4, first 2 shown]
	v_cmp_eq_f64_e64 s[4:5], 0, v[3:4]
	s_waitcnt lgkmcnt(0)
	s_sub_i32 s13, s2, s12
	s_mul_i32 s6, s14, s13
	s_sub_i32 s33, s3, s12
	v_add_u32_e32 v6, s6, v5
	s_cmp_lt_i32 s2, s3
	v_mul_lo_u32 v10, s15, v6
	s_cselect_b64 s[24:25], -1, 0
	v_and_b32_e32 v0, 31, v0
	s_cmp_lg_u32 s20, 0
	v_cndmask_b32_e64 v6, 0, 1, s[24:25]
	v_cmp_gt_i32_e64 s[0:1], s15, v0
	s_cselect_b64 s[20:21], -1, 0
	v_cmp_eq_u32_e64 s[2:3], 31, v0
	s_mov_b64 s[22:23], 0
	s_lshl_b32 s35, s15, 4
	s_mul_i32 s36, s15, s14
	v_cmp_ne_u32_e64 s[6:7], 1, v6
	s_branch .LBB43_8
.LBB43_7:                               ;   in Loop: Header=BB43_8 Depth=1
	s_or_b64 exec, exec, s[24:25]
	v_add_u32_e32 v5, 16, v5
	v_cmp_le_i32_e32 vcc, s14, v5
	s_or_b64 s[22:23], vcc, s[22:23]
	v_add_u32_e32 v10, s35, v10
	s_andn2_b64 exec, exec, s[22:23]
	s_cbranch_execz .LBB43_24
.LBB43_8:                               ; =>This Loop Header: Depth=1
                                        ;     Child Loop BB43_12 Depth 2
                                        ;       Child Loop BB43_15 Depth 3
	v_mov_b32_e32 v6, 0
	v_mov_b32_e32 v7, 0
	s_and_b64 vcc, exec, s[6:7]
	s_cbranch_vccnz .LBB43_19
; %bb.9:                                ;   in Loop: Header=BB43_8 Depth=1
	v_mov_b32_e32 v6, 0
	v_mov_b32_e32 v7, 0
	;; [unrolled: 1-line block ×3, first 2 shown]
	s_mov_b32 s24, s13
	s_branch .LBB43_12
.LBB43_10:                              ;   in Loop: Header=BB43_12 Depth=2
	s_or_b64 exec, exec, s[28:29]
.LBB43_11:                              ;   in Loop: Header=BB43_12 Depth=2
	s_or_b64 exec, exec, s[26:27]
	s_add_i32 s24, s24, 1
	s_cmp_ge_i32 s24, s33
	v_add_u32_e32 v11, s36, v11
	s_cbranch_scc1 .LBB43_19
.LBB43_12:                              ;   Parent Loop BB43_8 Depth=1
                                        ; =>  This Loop Header: Depth=2
                                        ;       Child Loop BB43_15 Depth 3
	s_and_saveexec_b64 s[26:27], s[0:1]
	s_cbranch_execz .LBB43_11
; %bb.13:                               ;   in Loop: Header=BB43_12 Depth=2
	s_ashr_i32 s25, s24, 31
	s_lshl_b64 s[28:29], s[24:25], 2
	s_add_u32 s28, s10, s28
	s_addc_u32 s29, s11, s29
	s_load_dword s30, s[28:29], 0x0
	s_mul_i32 s25, s24, s15
	s_mov_b64 s[28:29], 0
	v_mov_b32_e32 v12, v0
	s_waitcnt lgkmcnt(0)
	s_sub_i32 s37, s30, s12
	s_mul_i32 s37, s37, s15
	s_branch .LBB43_15
.LBB43_14:                              ;   in Loop: Header=BB43_15 Depth=3
	v_ashrrev_i32_e32 v9, 31, v8
	v_lshlrev_b64 v[8:9], 3, v[8:9]
	v_mov_b32_e32 v13, s9
	v_add_co_u32_e32 v8, vcc, s8, v8
	v_addc_co_u32_e32 v9, vcc, v13, v9, vcc
	v_add_u32_e32 v13, s37, v12
	v_ashrrev_i32_e32 v14, 31, v13
	v_lshlrev_b64 v[13:14], 3, v[13:14]
	v_mov_b32_e32 v15, s17
	v_add_co_u32_e32 v13, vcc, s16, v13
	v_addc_co_u32_e32 v14, vcc, v15, v14, vcc
	global_load_dwordx2 v[8:9], v[8:9], off
	v_add_u32_e32 v12, 32, v12
	global_load_dwordx2 v[13:14], v[13:14], off
	v_cmp_le_i32_e32 vcc, s15, v12
	s_or_b64 s[28:29], vcc, s[28:29]
	s_waitcnt vmcnt(0)
	v_fma_f64 v[6:7], v[8:9], v[13:14], v[6:7]
	s_andn2_b64 exec, exec, s[28:29]
	s_cbranch_execz .LBB43_10
.LBB43_15:                              ;   Parent Loop BB43_8 Depth=1
                                        ;     Parent Loop BB43_12 Depth=2
                                        ; =>    This Inner Loop Header: Depth=3
	s_and_b64 vcc, exec, s[20:21]
	s_cbranch_vccz .LBB43_17
; %bb.16:                               ;   in Loop: Header=BB43_15 Depth=3
	v_add_u32_e32 v8, s25, v12
	v_mad_u64_u32 v[8:9], s[30:31], v8, s14, v[5:6]
	s_cbranch_execnz .LBB43_14
	s_branch .LBB43_18
.LBB43_17:                              ;   in Loop: Header=BB43_15 Depth=3
                                        ; implicit-def: $vgpr8
.LBB43_18:                              ;   in Loop: Header=BB43_15 Depth=3
	v_add_u32_e32 v8, v11, v12
	s_branch .LBB43_14
.LBB43_19:                              ;   in Loop: Header=BB43_8 Depth=1
	v_mov_b32_dpp v8, v6 row_shr:1 row_mask:0xf bank_mask:0xf
	v_mov_b32_dpp v9, v7 row_shr:1 row_mask:0xf bank_mask:0xf
	v_add_f64 v[6:7], v[6:7], v[8:9]
	s_nop 1
	v_mov_b32_dpp v8, v6 row_shr:2 row_mask:0xf bank_mask:0xf
	v_mov_b32_dpp v9, v7 row_shr:2 row_mask:0xf bank_mask:0xf
	v_add_f64 v[6:7], v[6:7], v[8:9]
	s_nop 1
	;; [unrolled: 4-line block ×4, first 2 shown]
	v_mov_b32_dpp v8, v6 row_bcast:15 row_mask:0xa bank_mask:0xf
	v_mov_b32_dpp v9, v7 row_bcast:15 row_mask:0xa bank_mask:0xf
	s_and_saveexec_b64 s[24:25], s[2:3]
	s_cbranch_execz .LBB43_7
; %bb.20:                               ;   in Loop: Header=BB43_8 Depth=1
	v_add_f64 v[6:7], v[6:7], v[8:9]
	v_add_u32_e32 v8, s34, v5
	v_ashrrev_i32_e32 v9, 31, v8
	v_mul_f64 v[6:7], v[1:2], v[6:7]
	s_and_saveexec_b64 s[26:27], s[4:5]
	s_xor_b64 s[26:27], exec, s[26:27]
	s_cbranch_execz .LBB43_22
; %bb.21:                               ;   in Loop: Header=BB43_8 Depth=1
	v_lshlrev_b64 v[8:9], 3, v[8:9]
	v_mov_b32_e32 v11, s19
	v_add_co_u32_e32 v8, vcc, s18, v8
	v_addc_co_u32_e32 v9, vcc, v11, v9, vcc
	global_store_dwordx2 v[8:9], v[6:7], off
                                        ; implicit-def: $vgpr8
                                        ; implicit-def: $vgpr6_vgpr7
.LBB43_22:                              ;   in Loop: Header=BB43_8 Depth=1
	s_andn2_saveexec_b64 s[26:27], s[26:27]
	s_cbranch_execz .LBB43_7
; %bb.23:                               ;   in Loop: Header=BB43_8 Depth=1
	v_lshlrev_b64 v[8:9], 3, v[8:9]
	v_mov_b32_e32 v11, s19
	v_add_co_u32_e32 v8, vcc, s18, v8
	v_addc_co_u32_e32 v9, vcc, v11, v9, vcc
	global_load_dwordx2 v[11:12], v[8:9], off
	s_waitcnt vmcnt(0)
	v_fma_f64 v[6:7], v[3:4], v[11:12], v[6:7]
	global_store_dwordx2 v[8:9], v[6:7], off
	s_branch .LBB43_7
.LBB43_24:
	s_endpgm
	.section	.rodata,"a",@progbits
	.p2align	6, 0x0
	.amdhsa_kernel _ZN9rocsparseL23gebsrmvn_general_kernelILj512ELj32EdEEvi20rocsparse_direction_NS_24const_host_device_scalarIT1_EEPKiS6_PKS3_iiS8_S4_PS3_21rocsparse_index_base_b
		.amdhsa_group_segment_fixed_size 0
		.amdhsa_private_segment_fixed_size 0
		.amdhsa_kernarg_size 80
		.amdhsa_user_sgpr_count 6
		.amdhsa_user_sgpr_private_segment_buffer 1
		.amdhsa_user_sgpr_dispatch_ptr 0
		.amdhsa_user_sgpr_queue_ptr 0
		.amdhsa_user_sgpr_kernarg_segment_ptr 1
		.amdhsa_user_sgpr_dispatch_id 0
		.amdhsa_user_sgpr_flat_scratch_init 0
		.amdhsa_user_sgpr_private_segment_size 0
		.amdhsa_uses_dynamic_stack 0
		.amdhsa_system_sgpr_private_segment_wavefront_offset 0
		.amdhsa_system_sgpr_workgroup_id_x 1
		.amdhsa_system_sgpr_workgroup_id_y 0
		.amdhsa_system_sgpr_workgroup_id_z 0
		.amdhsa_system_sgpr_workgroup_info 0
		.amdhsa_system_vgpr_workitem_id 0
		.amdhsa_next_free_vgpr 16
		.amdhsa_next_free_sgpr 38
		.amdhsa_reserve_vcc 1
		.amdhsa_reserve_flat_scratch 0
		.amdhsa_float_round_mode_32 0
		.amdhsa_float_round_mode_16_64 0
		.amdhsa_float_denorm_mode_32 3
		.amdhsa_float_denorm_mode_16_64 3
		.amdhsa_dx10_clamp 1
		.amdhsa_ieee_mode 1
		.amdhsa_fp16_overflow 0
		.amdhsa_exception_fp_ieee_invalid_op 0
		.amdhsa_exception_fp_denorm_src 0
		.amdhsa_exception_fp_ieee_div_zero 0
		.amdhsa_exception_fp_ieee_overflow 0
		.amdhsa_exception_fp_ieee_underflow 0
		.amdhsa_exception_fp_ieee_inexact 0
		.amdhsa_exception_int_div_zero 0
	.end_amdhsa_kernel
	.section	.text._ZN9rocsparseL23gebsrmvn_general_kernelILj512ELj32EdEEvi20rocsparse_direction_NS_24const_host_device_scalarIT1_EEPKiS6_PKS3_iiS8_S4_PS3_21rocsparse_index_base_b,"axG",@progbits,_ZN9rocsparseL23gebsrmvn_general_kernelILj512ELj32EdEEvi20rocsparse_direction_NS_24const_host_device_scalarIT1_EEPKiS6_PKS3_iiS8_S4_PS3_21rocsparse_index_base_b,comdat
.Lfunc_end43:
	.size	_ZN9rocsparseL23gebsrmvn_general_kernelILj512ELj32EdEEvi20rocsparse_direction_NS_24const_host_device_scalarIT1_EEPKiS6_PKS3_iiS8_S4_PS3_21rocsparse_index_base_b, .Lfunc_end43-_ZN9rocsparseL23gebsrmvn_general_kernelILj512ELj32EdEEvi20rocsparse_direction_NS_24const_host_device_scalarIT1_EEPKiS6_PKS3_iiS8_S4_PS3_21rocsparse_index_base_b
                                        ; -- End function
	.set _ZN9rocsparseL23gebsrmvn_general_kernelILj512ELj32EdEEvi20rocsparse_direction_NS_24const_host_device_scalarIT1_EEPKiS6_PKS3_iiS8_S4_PS3_21rocsparse_index_base_b.num_vgpr, 16
	.set _ZN9rocsparseL23gebsrmvn_general_kernelILj512ELj32EdEEvi20rocsparse_direction_NS_24const_host_device_scalarIT1_EEPKiS6_PKS3_iiS8_S4_PS3_21rocsparse_index_base_b.num_agpr, 0
	.set _ZN9rocsparseL23gebsrmvn_general_kernelILj512ELj32EdEEvi20rocsparse_direction_NS_24const_host_device_scalarIT1_EEPKiS6_PKS3_iiS8_S4_PS3_21rocsparse_index_base_b.numbered_sgpr, 38
	.set _ZN9rocsparseL23gebsrmvn_general_kernelILj512ELj32EdEEvi20rocsparse_direction_NS_24const_host_device_scalarIT1_EEPKiS6_PKS3_iiS8_S4_PS3_21rocsparse_index_base_b.num_named_barrier, 0
	.set _ZN9rocsparseL23gebsrmvn_general_kernelILj512ELj32EdEEvi20rocsparse_direction_NS_24const_host_device_scalarIT1_EEPKiS6_PKS3_iiS8_S4_PS3_21rocsparse_index_base_b.private_seg_size, 0
	.set _ZN9rocsparseL23gebsrmvn_general_kernelILj512ELj32EdEEvi20rocsparse_direction_NS_24const_host_device_scalarIT1_EEPKiS6_PKS3_iiS8_S4_PS3_21rocsparse_index_base_b.uses_vcc, 1
	.set _ZN9rocsparseL23gebsrmvn_general_kernelILj512ELj32EdEEvi20rocsparse_direction_NS_24const_host_device_scalarIT1_EEPKiS6_PKS3_iiS8_S4_PS3_21rocsparse_index_base_b.uses_flat_scratch, 0
	.set _ZN9rocsparseL23gebsrmvn_general_kernelILj512ELj32EdEEvi20rocsparse_direction_NS_24const_host_device_scalarIT1_EEPKiS6_PKS3_iiS8_S4_PS3_21rocsparse_index_base_b.has_dyn_sized_stack, 0
	.set _ZN9rocsparseL23gebsrmvn_general_kernelILj512ELj32EdEEvi20rocsparse_direction_NS_24const_host_device_scalarIT1_EEPKiS6_PKS3_iiS8_S4_PS3_21rocsparse_index_base_b.has_recursion, 0
	.set _ZN9rocsparseL23gebsrmvn_general_kernelILj512ELj32EdEEvi20rocsparse_direction_NS_24const_host_device_scalarIT1_EEPKiS6_PKS3_iiS8_S4_PS3_21rocsparse_index_base_b.has_indirect_call, 0
	.section	.AMDGPU.csdata,"",@progbits
; Kernel info:
; codeLenInByte = 884
; TotalNumSgprs: 42
; NumVgprs: 16
; ScratchSize: 0
; MemoryBound: 0
; FloatMode: 240
; IeeeMode: 1
; LDSByteSize: 0 bytes/workgroup (compile time only)
; SGPRBlocks: 5
; VGPRBlocks: 3
; NumSGPRsForWavesPerEU: 42
; NumVGPRsForWavesPerEU: 16
; Occupancy: 10
; WaveLimiterHint : 1
; COMPUTE_PGM_RSRC2:SCRATCH_EN: 0
; COMPUTE_PGM_RSRC2:USER_SGPR: 6
; COMPUTE_PGM_RSRC2:TRAP_HANDLER: 0
; COMPUTE_PGM_RSRC2:TGID_X_EN: 1
; COMPUTE_PGM_RSRC2:TGID_Y_EN: 0
; COMPUTE_PGM_RSRC2:TGID_Z_EN: 0
; COMPUTE_PGM_RSRC2:TIDIG_COMP_CNT: 0
	.section	.text._ZN9rocsparseL22gebsrmvn_mxn_16_kernelILj60ELj10ELj1EdEEvi20rocsparse_direction_NS_24const_host_device_scalarIT2_EEPKiS6_PKS3_iiS8_S4_PS3_21rocsparse_index_base_b,"axG",@progbits,_ZN9rocsparseL22gebsrmvn_mxn_16_kernelILj60ELj10ELj1EdEEvi20rocsparse_direction_NS_24const_host_device_scalarIT2_EEPKiS6_PKS3_iiS8_S4_PS3_21rocsparse_index_base_b,comdat
	.globl	_ZN9rocsparseL22gebsrmvn_mxn_16_kernelILj60ELj10ELj1EdEEvi20rocsparse_direction_NS_24const_host_device_scalarIT2_EEPKiS6_PKS3_iiS8_S4_PS3_21rocsparse_index_base_b ; -- Begin function _ZN9rocsparseL22gebsrmvn_mxn_16_kernelILj60ELj10ELj1EdEEvi20rocsparse_direction_NS_24const_host_device_scalarIT2_EEPKiS6_PKS3_iiS8_S4_PS3_21rocsparse_index_base_b
	.p2align	8
	.type	_ZN9rocsparseL22gebsrmvn_mxn_16_kernelILj60ELj10ELj1EdEEvi20rocsparse_direction_NS_24const_host_device_scalarIT2_EEPKiS6_PKS3_iiS8_S4_PS3_21rocsparse_index_base_b,@function
_ZN9rocsparseL22gebsrmvn_mxn_16_kernelILj60ELj10ELj1EdEEvi20rocsparse_direction_NS_24const_host_device_scalarIT2_EEPKiS6_PKS3_iiS8_S4_PS3_21rocsparse_index_base_b: ; @_ZN9rocsparseL22gebsrmvn_mxn_16_kernelILj60ELj10ELj1EdEEvi20rocsparse_direction_NS_24const_host_device_scalarIT2_EEPKiS6_PKS3_iiS8_S4_PS3_21rocsparse_index_base_b
; %bb.0:
	s_load_dwordx2 s[10:11], s[4:5], 0x48
	s_load_dwordx2 s[8:9], s[4:5], 0x8
	;; [unrolled: 1-line block ×3, first 2 shown]
	s_waitcnt lgkmcnt(0)
	s_bitcmp1_b32 s11, 0
	s_cselect_b64 s[12:13], -1, 0
	v_mov_b32_e32 v3, s8
	s_xor_b64 s[2:3], s[12:13], -1
	s_and_b64 vcc, exec, s[12:13]
	v_mov_b32_e32 v4, s9
	s_cbranch_vccnz .LBB44_2
; %bb.1:
	v_mov_b32_e32 v1, s8
	v_mov_b32_e32 v2, s9
	flat_load_dwordx2 v[3:4], v[1:2]
.LBB44_2:
	v_mov_b32_e32 v2, s1
	s_andn2_b64 vcc, exec, s[2:3]
	v_mov_b32_e32 v1, s0
	s_cbranch_vccnz .LBB44_4
; %bb.3:
	v_mov_b32_e32 v2, s1
	v_mov_b32_e32 v1, s0
	flat_load_dwordx2 v[1:2], v[1:2]
.LBB44_4:
	s_waitcnt vmcnt(0) lgkmcnt(0)
	v_cmp_neq_f64_e32 vcc, 0, v[3:4]
	v_cmp_neq_f64_e64 s[0:1], 1.0, v[1:2]
	s_or_b64 s[0:1], vcc, s[0:1]
	s_and_saveexec_b64 s[2:3], s[0:1]
	s_cbranch_execz .LBB44_24
; %bb.5:
	s_load_dwordx2 s[0:1], s[4:5], 0x10
	s_ashr_i32 s7, s6, 31
	s_lshl_b64 s[2:3], s[6:7], 2
	s_waitcnt lgkmcnt(0)
	s_add_u32 s0, s0, s2
	s_addc_u32 s1, s1, s3
	s_load_dwordx2 s[14:15], s[0:1], 0x0
	s_waitcnt lgkmcnt(0)
	s_cmp_lt_i32 s14, s15
	s_cbranch_scc1 .LBB44_7
; %bb.6:
	s_mov_b64 s[0:1], 0
	s_branch .LBB44_8
.LBB44_7:
	s_mov_b64 s[0:1], -1
.LBB44_8:
	s_load_dwordx2 s[8:9], s[4:5], 0x40
	v_mov_b32_e32 v5, 0
	v_mov_b32_e32 v6, 0
	s_andn2_b64 vcc, exec, s[0:1]
	s_cbranch_vccnz .LBB44_13
; %bb.9:
	s_load_dwordx4 s[0:3], s[4:5], 0x18
	s_load_dwordx2 s[12:13], s[4:5], 0x30
	v_mad_u64_u32 v[5:6], s[4:5], s14, 10, v[0:1]
	s_mul_i32 s4, s10, 10
	s_sub_i32 s7, s15, s10
	v_subrev_u32_e32 v7, s4, v5
	v_mov_b32_e32 v5, 0
	s_sub_i32 s11, s14, s10
	v_mul_u32_u24_e32 v11, 0x199a, v0
	v_mov_b32_e32 v6, 0
	v_mov_b32_e32 v8, 0
	s_branch .LBB44_11
.LBB44_10:                              ;   in Loop: Header=BB44_11 Depth=1
	s_or_b64 exec, exec, s[4:5]
	s_add_i32 s11, s11, 6
	s_cmp_ge_i32 s11, s7
	v_add_u32_e32 v7, 60, v7
	s_cbranch_scc1 .LBB44_13
.LBB44_11:                              ; =>This Inner Loop Header: Depth=1
	v_add_u32_sdwa v9, v11, s11 dst_sel:DWORD dst_unused:UNUSED_PAD src0_sel:WORD_1 src1_sel:DWORD
	v_cmp_gt_i32_e32 vcc, s7, v9
	s_and_saveexec_b64 s[4:5], vcc
	s_cbranch_execz .LBB44_10
; %bb.12:                               ;   in Loop: Header=BB44_11 Depth=1
	v_ashrrev_i32_e32 v10, 31, v9
	v_lshlrev_b64 v[9:10], 2, v[9:10]
	s_waitcnt lgkmcnt(0)
	v_mov_b32_e32 v12, s1
	v_add_co_u32_e32 v9, vcc, s0, v9
	v_addc_co_u32_e32 v10, vcc, v12, v10, vcc
	global_load_dword v12, v[9:10], off
	v_lshlrev_b64 v[9:10], 3, v[7:8]
	v_mov_b32_e32 v13, s3
	v_add_co_u32_e32 v9, vcc, s2, v9
	v_addc_co_u32_e32 v10, vcc, v13, v10, vcc
	v_mov_b32_e32 v14, s13
	global_load_dwordx2 v[9:10], v[9:10], off
	s_waitcnt vmcnt(1)
	v_subrev_u32_e32 v12, s10, v12
	v_ashrrev_i32_e32 v13, 31, v12
	v_lshlrev_b64 v[12:13], 3, v[12:13]
	v_add_co_u32_e32 v12, vcc, s12, v12
	v_addc_co_u32_e32 v13, vcc, v14, v13, vcc
	global_load_dwordx2 v[12:13], v[12:13], off
	s_waitcnt vmcnt(0)
	v_fma_f64 v[5:6], v[9:10], v[12:13], v[5:6]
	s_branch .LBB44_10
.LBB44_13:
	v_lshlrev_b32_e32 v7, 3, v0
	v_cmp_gt_u32_e32 vcc, 20, v0
	ds_write_b64 v7, v[5:6]
	s_waitcnt lgkmcnt(0)
	; wave barrier
	s_and_saveexec_b64 s[0:1], vcc
	s_cbranch_execz .LBB44_15
; %bb.14:
	ds_read2_b64 v[8:11], v7 offset1:40
	s_waitcnt lgkmcnt(0)
	v_add_f64 v[5:6], v[10:11], v[8:9]
	ds_write_b64 v7, v[5:6]
.LBB44_15:
	s_or_b64 exec, exec, s[0:1]
	s_waitcnt lgkmcnt(0)
	; wave barrier
	s_and_saveexec_b64 s[0:1], vcc
	s_cbranch_execz .LBB44_17
; %bb.16:
	ds_read2_b64 v[8:11], v7 offset1:20
	s_waitcnt lgkmcnt(0)
	v_add_f64 v[5:6], v[10:11], v[8:9]
	ds_write_b64 v7, v[5:6]
.LBB44_17:
	s_or_b64 exec, exec, s[0:1]
	v_cmp_gt_u32_e32 vcc, 10, v0
	s_waitcnt lgkmcnt(0)
	; wave barrier
	s_and_saveexec_b64 s[0:1], vcc
	s_cbranch_execz .LBB44_19
; %bb.18:
	ds_read2_b64 v[8:11], v7 offset1:10
	s_waitcnt lgkmcnt(0)
	v_add_f64 v[5:6], v[10:11], v[8:9]
	ds_write_b64 v7, v[5:6]
.LBB44_19:
	s_or_b64 exec, exec, s[0:1]
	s_waitcnt lgkmcnt(0)
	; wave barrier
	s_and_b64 exec, exec, vcc
	s_cbranch_execz .LBB44_24
; %bb.20:
	ds_read_b64 v[5:6], v7
	v_cmp_eq_f64_e32 vcc, 0, v[1:2]
	s_waitcnt lgkmcnt(0)
	v_mul_f64 v[3:4], v[3:4], v[5:6]
	s_and_saveexec_b64 s[0:1], vcc
	s_xor_b64 s[0:1], exec, s[0:1]
	s_cbranch_execz .LBB44_22
; %bb.21:
	v_mad_u64_u32 v[0:1], s[2:3], s6, 10, v[0:1]
	v_mov_b32_e32 v1, 0
	v_mov_b32_e32 v2, s9
	v_lshlrev_b64 v[0:1], 3, v[0:1]
	v_add_co_u32_e32 v0, vcc, s8, v0
	v_addc_co_u32_e32 v1, vcc, v2, v1, vcc
	global_store_dwordx2 v[0:1], v[3:4], off
                                        ; implicit-def: $vgpr0
                                        ; implicit-def: $vgpr1_vgpr2
                                        ; implicit-def: $vgpr3_vgpr4
.LBB44_22:
	s_andn2_saveexec_b64 s[0:1], s[0:1]
	s_cbranch_execz .LBB44_24
; %bb.23:
	v_mad_u64_u32 v[5:6], s[0:1], s6, 10, v[0:1]
	v_mov_b32_e32 v6, 0
	v_mov_b32_e32 v0, s9
	v_lshlrev_b64 v[5:6], 3, v[5:6]
	v_add_co_u32_e32 v5, vcc, s8, v5
	v_addc_co_u32_e32 v6, vcc, v0, v6, vcc
	global_load_dwordx2 v[7:8], v[5:6], off
	s_waitcnt vmcnt(0)
	v_fma_f64 v[0:1], v[1:2], v[7:8], v[3:4]
	global_store_dwordx2 v[5:6], v[0:1], off
.LBB44_24:
	s_endpgm
	.section	.rodata,"a",@progbits
	.p2align	6, 0x0
	.amdhsa_kernel _ZN9rocsparseL22gebsrmvn_mxn_16_kernelILj60ELj10ELj1EdEEvi20rocsparse_direction_NS_24const_host_device_scalarIT2_EEPKiS6_PKS3_iiS8_S4_PS3_21rocsparse_index_base_b
		.amdhsa_group_segment_fixed_size 480
		.amdhsa_private_segment_fixed_size 0
		.amdhsa_kernarg_size 80
		.amdhsa_user_sgpr_count 6
		.amdhsa_user_sgpr_private_segment_buffer 1
		.amdhsa_user_sgpr_dispatch_ptr 0
		.amdhsa_user_sgpr_queue_ptr 0
		.amdhsa_user_sgpr_kernarg_segment_ptr 1
		.amdhsa_user_sgpr_dispatch_id 0
		.amdhsa_user_sgpr_flat_scratch_init 0
		.amdhsa_user_sgpr_private_segment_size 0
		.amdhsa_uses_dynamic_stack 0
		.amdhsa_system_sgpr_private_segment_wavefront_offset 0
		.amdhsa_system_sgpr_workgroup_id_x 1
		.amdhsa_system_sgpr_workgroup_id_y 0
		.amdhsa_system_sgpr_workgroup_id_z 0
		.amdhsa_system_sgpr_workgroup_info 0
		.amdhsa_system_vgpr_workitem_id 0
		.amdhsa_next_free_vgpr 15
		.amdhsa_next_free_sgpr 16
		.amdhsa_reserve_vcc 1
		.amdhsa_reserve_flat_scratch 0
		.amdhsa_float_round_mode_32 0
		.amdhsa_float_round_mode_16_64 0
		.amdhsa_float_denorm_mode_32 3
		.amdhsa_float_denorm_mode_16_64 3
		.amdhsa_dx10_clamp 1
		.amdhsa_ieee_mode 1
		.amdhsa_fp16_overflow 0
		.amdhsa_exception_fp_ieee_invalid_op 0
		.amdhsa_exception_fp_denorm_src 0
		.amdhsa_exception_fp_ieee_div_zero 0
		.amdhsa_exception_fp_ieee_overflow 0
		.amdhsa_exception_fp_ieee_underflow 0
		.amdhsa_exception_fp_ieee_inexact 0
		.amdhsa_exception_int_div_zero 0
	.end_amdhsa_kernel
	.section	.text._ZN9rocsparseL22gebsrmvn_mxn_16_kernelILj60ELj10ELj1EdEEvi20rocsparse_direction_NS_24const_host_device_scalarIT2_EEPKiS6_PKS3_iiS8_S4_PS3_21rocsparse_index_base_b,"axG",@progbits,_ZN9rocsparseL22gebsrmvn_mxn_16_kernelILj60ELj10ELj1EdEEvi20rocsparse_direction_NS_24const_host_device_scalarIT2_EEPKiS6_PKS3_iiS8_S4_PS3_21rocsparse_index_base_b,comdat
.Lfunc_end44:
	.size	_ZN9rocsparseL22gebsrmvn_mxn_16_kernelILj60ELj10ELj1EdEEvi20rocsparse_direction_NS_24const_host_device_scalarIT2_EEPKiS6_PKS3_iiS8_S4_PS3_21rocsparse_index_base_b, .Lfunc_end44-_ZN9rocsparseL22gebsrmvn_mxn_16_kernelILj60ELj10ELj1EdEEvi20rocsparse_direction_NS_24const_host_device_scalarIT2_EEPKiS6_PKS3_iiS8_S4_PS3_21rocsparse_index_base_b
                                        ; -- End function
	.set _ZN9rocsparseL22gebsrmvn_mxn_16_kernelILj60ELj10ELj1EdEEvi20rocsparse_direction_NS_24const_host_device_scalarIT2_EEPKiS6_PKS3_iiS8_S4_PS3_21rocsparse_index_base_b.num_vgpr, 15
	.set _ZN9rocsparseL22gebsrmvn_mxn_16_kernelILj60ELj10ELj1EdEEvi20rocsparse_direction_NS_24const_host_device_scalarIT2_EEPKiS6_PKS3_iiS8_S4_PS3_21rocsparse_index_base_b.num_agpr, 0
	.set _ZN9rocsparseL22gebsrmvn_mxn_16_kernelILj60ELj10ELj1EdEEvi20rocsparse_direction_NS_24const_host_device_scalarIT2_EEPKiS6_PKS3_iiS8_S4_PS3_21rocsparse_index_base_b.numbered_sgpr, 16
	.set _ZN9rocsparseL22gebsrmvn_mxn_16_kernelILj60ELj10ELj1EdEEvi20rocsparse_direction_NS_24const_host_device_scalarIT2_EEPKiS6_PKS3_iiS8_S4_PS3_21rocsparse_index_base_b.num_named_barrier, 0
	.set _ZN9rocsparseL22gebsrmvn_mxn_16_kernelILj60ELj10ELj1EdEEvi20rocsparse_direction_NS_24const_host_device_scalarIT2_EEPKiS6_PKS3_iiS8_S4_PS3_21rocsparse_index_base_b.private_seg_size, 0
	.set _ZN9rocsparseL22gebsrmvn_mxn_16_kernelILj60ELj10ELj1EdEEvi20rocsparse_direction_NS_24const_host_device_scalarIT2_EEPKiS6_PKS3_iiS8_S4_PS3_21rocsparse_index_base_b.uses_vcc, 1
	.set _ZN9rocsparseL22gebsrmvn_mxn_16_kernelILj60ELj10ELj1EdEEvi20rocsparse_direction_NS_24const_host_device_scalarIT2_EEPKiS6_PKS3_iiS8_S4_PS3_21rocsparse_index_base_b.uses_flat_scratch, 0
	.set _ZN9rocsparseL22gebsrmvn_mxn_16_kernelILj60ELj10ELj1EdEEvi20rocsparse_direction_NS_24const_host_device_scalarIT2_EEPKiS6_PKS3_iiS8_S4_PS3_21rocsparse_index_base_b.has_dyn_sized_stack, 0
	.set _ZN9rocsparseL22gebsrmvn_mxn_16_kernelILj60ELj10ELj1EdEEvi20rocsparse_direction_NS_24const_host_device_scalarIT2_EEPKiS6_PKS3_iiS8_S4_PS3_21rocsparse_index_base_b.has_recursion, 0
	.set _ZN9rocsparseL22gebsrmvn_mxn_16_kernelILj60ELj10ELj1EdEEvi20rocsparse_direction_NS_24const_host_device_scalarIT2_EEPKiS6_PKS3_iiS8_S4_PS3_21rocsparse_index_base_b.has_indirect_call, 0
	.section	.AMDGPU.csdata,"",@progbits
; Kernel info:
; codeLenInByte = 752
; TotalNumSgprs: 20
; NumVgprs: 15
; ScratchSize: 0
; MemoryBound: 0
; FloatMode: 240
; IeeeMode: 1
; LDSByteSize: 480 bytes/workgroup (compile time only)
; SGPRBlocks: 2
; VGPRBlocks: 3
; NumSGPRsForWavesPerEU: 20
; NumVGPRsForWavesPerEU: 15
; Occupancy: 10
; WaveLimiterHint : 1
; COMPUTE_PGM_RSRC2:SCRATCH_EN: 0
; COMPUTE_PGM_RSRC2:USER_SGPR: 6
; COMPUTE_PGM_RSRC2:TRAP_HANDLER: 0
; COMPUTE_PGM_RSRC2:TGID_X_EN: 1
; COMPUTE_PGM_RSRC2:TGID_Y_EN: 0
; COMPUTE_PGM_RSRC2:TGID_Z_EN: 0
; COMPUTE_PGM_RSRC2:TIDIG_COMP_CNT: 0
	.section	.text._ZN9rocsparseL22gebsrmvn_mxn_16_kernelILj60ELj10ELj2EdEEvi20rocsparse_direction_NS_24const_host_device_scalarIT2_EEPKiS6_PKS3_iiS8_S4_PS3_21rocsparse_index_base_b,"axG",@progbits,_ZN9rocsparseL22gebsrmvn_mxn_16_kernelILj60ELj10ELj2EdEEvi20rocsparse_direction_NS_24const_host_device_scalarIT2_EEPKiS6_PKS3_iiS8_S4_PS3_21rocsparse_index_base_b,comdat
	.globl	_ZN9rocsparseL22gebsrmvn_mxn_16_kernelILj60ELj10ELj2EdEEvi20rocsparse_direction_NS_24const_host_device_scalarIT2_EEPKiS6_PKS3_iiS8_S4_PS3_21rocsparse_index_base_b ; -- Begin function _ZN9rocsparseL22gebsrmvn_mxn_16_kernelILj60ELj10ELj2EdEEvi20rocsparse_direction_NS_24const_host_device_scalarIT2_EEPKiS6_PKS3_iiS8_S4_PS3_21rocsparse_index_base_b
	.p2align	8
	.type	_ZN9rocsparseL22gebsrmvn_mxn_16_kernelILj60ELj10ELj2EdEEvi20rocsparse_direction_NS_24const_host_device_scalarIT2_EEPKiS6_PKS3_iiS8_S4_PS3_21rocsparse_index_base_b,@function
_ZN9rocsparseL22gebsrmvn_mxn_16_kernelILj60ELj10ELj2EdEEvi20rocsparse_direction_NS_24const_host_device_scalarIT2_EEPKiS6_PKS3_iiS8_S4_PS3_21rocsparse_index_base_b: ; @_ZN9rocsparseL22gebsrmvn_mxn_16_kernelILj60ELj10ELj2EdEEvi20rocsparse_direction_NS_24const_host_device_scalarIT2_EEPKiS6_PKS3_iiS8_S4_PS3_21rocsparse_index_base_b
; %bb.0:
	s_load_dwordx2 s[10:11], s[4:5], 0x48
	s_load_dwordx2 s[8:9], s[4:5], 0x8
	;; [unrolled: 1-line block ×3, first 2 shown]
	s_waitcnt lgkmcnt(0)
	s_bitcmp1_b32 s11, 0
	s_cselect_b64 s[12:13], -1, 0
	v_mov_b32_e32 v3, s8
	s_xor_b64 s[2:3], s[12:13], -1
	s_and_b64 vcc, exec, s[12:13]
	v_mov_b32_e32 v4, s9
	s_cbranch_vccnz .LBB45_2
; %bb.1:
	v_mov_b32_e32 v1, s8
	v_mov_b32_e32 v2, s9
	flat_load_dwordx2 v[3:4], v[1:2]
.LBB45_2:
	v_mov_b32_e32 v2, s1
	s_andn2_b64 vcc, exec, s[2:3]
	v_mov_b32_e32 v1, s0
	s_cbranch_vccnz .LBB45_4
; %bb.3:
	v_mov_b32_e32 v2, s1
	v_mov_b32_e32 v1, s0
	flat_load_dwordx2 v[1:2], v[1:2]
.LBB45_4:
	s_waitcnt vmcnt(0) lgkmcnt(0)
	v_cmp_neq_f64_e32 vcc, 0, v[3:4]
	v_cmp_neq_f64_e64 s[0:1], 1.0, v[1:2]
	s_or_b64 s[0:1], vcc, s[0:1]
	s_and_saveexec_b64 s[2:3], s[0:1]
	s_cbranch_execz .LBB45_33
; %bb.5:
	s_load_dword s2, s[4:5], 0x4
	s_load_dwordx2 s[0:1], s[4:5], 0x10
	v_and_b32_e32 v11, 1, v0
	v_mov_b32_e32 v12, v11
	s_waitcnt lgkmcnt(0)
	s_cmp_lg_u32 s2, 1
	s_cselect_b64 s[12:13], -1, 0
	s_and_b64 vcc, exec, s[12:13]
	s_cbranch_vccnz .LBB45_7
; %bb.6:
	v_mul_u32_u24_e32 v5, 0x199a, v0
	v_bfe_u32 v12, v5, 16, 1
.LBB45_7:
	s_ashr_i32 s7, s6, 31
	s_lshl_b64 s[2:3], s[6:7], 2
	s_add_u32 s0, s0, s2
	s_addc_u32 s1, s1, s3
	s_load_dwordx2 s[16:17], s[0:1], 0x0
	s_load_dwordx2 s[8:9], s[4:5], 0x40
	v_mov_b32_e32 v5, 0
	v_mov_b32_e32 v6, 0
	s_waitcnt lgkmcnt(0)
	s_cmp_ge_i32 s16, s17
	s_cbranch_scc1 .LBB45_12
; %bb.8:
	s_load_dwordx4 s[0:3], s[4:5], 0x18
	s_load_dwordx2 s[14:15], s[4:5], 0x30
	v_mad_u64_u32 v[5:6], s[4:5], s16, 20, v[0:1]
	s_mul_i32 s4, s10, 20
	s_sub_i32 s7, s17, s10
	v_subrev_u32_e32 v7, s4, v5
	v_mov_b32_e32 v5, 0
	s_sub_i32 s11, s16, s10
	v_mul_u32_u24_e32 v13, 0xccd, v0
	v_mov_b32_e32 v6, 0
	v_mov_b32_e32 v8, 0
	s_branch .LBB45_10
.LBB45_9:                               ;   in Loop: Header=BB45_10 Depth=1
	s_or_b64 exec, exec, s[4:5]
	s_add_i32 s11, s11, 3
	s_cmp_ge_i32 s11, s7
	v_add_u32_e32 v7, 60, v7
	s_cbranch_scc1 .LBB45_12
.LBB45_10:                              ; =>This Inner Loop Header: Depth=1
	v_add_u32_sdwa v9, v13, s11 dst_sel:DWORD dst_unused:UNUSED_PAD src0_sel:WORD_1 src1_sel:DWORD
	v_cmp_gt_i32_e32 vcc, s7, v9
	s_and_saveexec_b64 s[4:5], vcc
	s_cbranch_execz .LBB45_9
; %bb.11:                               ;   in Loop: Header=BB45_10 Depth=1
	v_ashrrev_i32_e32 v10, 31, v9
	v_lshlrev_b64 v[9:10], 2, v[9:10]
	s_waitcnt lgkmcnt(0)
	v_mov_b32_e32 v14, s1
	v_add_co_u32_e32 v9, vcc, s0, v9
	v_addc_co_u32_e32 v10, vcc, v14, v10, vcc
	global_load_dword v14, v[9:10], off
	v_lshlrev_b64 v[9:10], 3, v[7:8]
	v_mov_b32_e32 v15, s3
	v_add_co_u32_e32 v9, vcc, s2, v9
	v_addc_co_u32_e32 v10, vcc, v15, v10, vcc
	v_mov_b32_e32 v16, s15
	global_load_dwordx2 v[9:10], v[9:10], off
	s_waitcnt vmcnt(1)
	v_subrev_u32_e32 v14, s10, v14
	v_lshl_or_b32 v14, v14, 1, v12
	v_ashrrev_i32_e32 v15, 31, v14
	v_lshlrev_b64 v[14:15], 3, v[14:15]
	v_add_co_u32_e32 v14, vcc, s14, v14
	v_addc_co_u32_e32 v15, vcc, v16, v15, vcc
	global_load_dwordx2 v[14:15], v[14:15], off
	s_waitcnt vmcnt(0)
	v_fma_f64 v[5:6], v[9:10], v[14:15], v[5:6]
	s_branch .LBB45_9
.LBB45_12:
	v_lshlrev_b32_e32 v9, 3, v0
	v_cmp_gt_u32_e32 vcc, 20, v0
	ds_write_b64 v9, v[5:6]
	s_waitcnt lgkmcnt(0)
	; wave barrier
	s_and_saveexec_b64 s[0:1], vcc
	s_cbranch_execz .LBB45_14
; %bb.13:
	ds_read2_b64 v[12:15], v9 offset1:40
	s_waitcnt lgkmcnt(0)
	v_add_f64 v[7:8], v[14:15], v[12:13]
	ds_write_b64 v9, v[7:8]
.LBB45_14:
	s_or_b64 exec, exec, s[0:1]
	s_waitcnt lgkmcnt(0)
	; wave barrier
	s_and_saveexec_b64 s[0:1], vcc
	s_cbranch_execz .LBB45_16
; %bb.15:
	ds_read2_b64 v[12:15], v9 offset1:20
	s_waitcnt lgkmcnt(0)
	v_add_f64 v[7:8], v[14:15], v[12:13]
	ds_write_b64 v9, v[7:8]
.LBB45_16:
	s_or_b64 exec, exec, s[0:1]
	s_and_b64 vcc, exec, s[12:13]
	s_waitcnt lgkmcnt(0)
	; wave barrier
	s_cbranch_vccz .LBB45_22
; %bb.17:
	v_cmp_eq_u32_e32 vcc, 0, v11
	s_and_saveexec_b64 s[0:1], vcc
	s_cbranch_execz .LBB45_19
; %bb.18:
	ds_read2_b64 v[10:13], v9 offset1:1
	s_waitcnt lgkmcnt(0)
	v_add_f64 v[7:8], v[12:13], v[10:11]
	ds_write_b64 v9, v[7:8]
.LBB45_19:
	s_or_b64 exec, exec, s[0:1]
	v_mov_b32_e32 v8, v6
	v_cmp_gt_u32_e32 vcc, 10, v0
	v_mov_b32_e32 v7, v5
	s_waitcnt lgkmcnt(0)
	; wave barrier
	s_and_saveexec_b64 s[0:1], vcc
; %bb.20:
	v_lshl_add_u32 v7, v0, 3, v9
	ds_read_b64 v[7:8], v7
; %bb.21:
	s_or_b64 exec, exec, s[0:1]
	s_branch .LBB45_28
.LBB45_22:
                                        ; implicit-def: $vgpr7_vgpr8
	s_cbranch_execz .LBB45_28
; %bb.23:
	v_cmp_lt_u32_e32 vcc, 9, v0
	s_and_saveexec_b64 s[0:1], vcc
	s_xor_b64 s[0:1], exec, s[0:1]
	s_cbranch_execz .LBB45_25
; %bb.24:
	s_waitcnt lgkmcnt(0)
                                        ; implicit-def: $vgpr9
.LBB45_25:
	s_andn2_saveexec_b64 s[0:1], s[0:1]
	s_cbranch_execz .LBB45_27
; %bb.26:
	s_waitcnt lgkmcnt(0)
	ds_read2_b64 v[5:8], v9 offset1:10
	s_waitcnt lgkmcnt(0)
	v_add_f64 v[5:6], v[7:8], v[5:6]
	ds_write_b64 v9, v[5:6]
	s_waitcnt lgkmcnt(0)
	ds_read_b64 v[5:6], v9
.LBB45_27:
	s_or_b64 exec, exec, s[0:1]
	s_waitcnt lgkmcnt(0)
	v_mov_b32_e32 v8, v6
	v_mov_b32_e32 v7, v5
.LBB45_28:
	v_cmp_gt_u32_e32 vcc, 10, v0
	s_and_b64 exec, exec, vcc
	s_cbranch_execz .LBB45_33
; %bb.29:
	v_cmp_eq_f64_e32 vcc, 0, v[1:2]
	s_waitcnt lgkmcnt(0)
	v_mul_f64 v[3:4], v[3:4], v[7:8]
	s_and_saveexec_b64 s[0:1], vcc
	s_xor_b64 s[0:1], exec, s[0:1]
	s_cbranch_execz .LBB45_31
; %bb.30:
	v_mad_u64_u32 v[0:1], s[2:3], s6, 10, v[0:1]
	v_mov_b32_e32 v1, 0
	v_mov_b32_e32 v2, s9
	v_lshlrev_b64 v[0:1], 3, v[0:1]
	v_add_co_u32_e32 v0, vcc, s8, v0
	v_addc_co_u32_e32 v1, vcc, v2, v1, vcc
	global_store_dwordx2 v[0:1], v[3:4], off
                                        ; implicit-def: $vgpr0
                                        ; implicit-def: $vgpr1_vgpr2
                                        ; implicit-def: $vgpr3_vgpr4
.LBB45_31:
	s_andn2_saveexec_b64 s[0:1], s[0:1]
	s_cbranch_execz .LBB45_33
; %bb.32:
	v_mad_u64_u32 v[5:6], s[0:1], s6, 10, v[0:1]
	v_mov_b32_e32 v6, 0
	v_mov_b32_e32 v0, s9
	v_lshlrev_b64 v[5:6], 3, v[5:6]
	v_add_co_u32_e32 v5, vcc, s8, v5
	v_addc_co_u32_e32 v6, vcc, v0, v6, vcc
	global_load_dwordx2 v[7:8], v[5:6], off
	s_waitcnt vmcnt(0)
	v_fma_f64 v[0:1], v[1:2], v[7:8], v[3:4]
	global_store_dwordx2 v[5:6], v[0:1], off
.LBB45_33:
	s_endpgm
	.section	.rodata,"a",@progbits
	.p2align	6, 0x0
	.amdhsa_kernel _ZN9rocsparseL22gebsrmvn_mxn_16_kernelILj60ELj10ELj2EdEEvi20rocsparse_direction_NS_24const_host_device_scalarIT2_EEPKiS6_PKS3_iiS8_S4_PS3_21rocsparse_index_base_b
		.amdhsa_group_segment_fixed_size 480
		.amdhsa_private_segment_fixed_size 0
		.amdhsa_kernarg_size 80
		.amdhsa_user_sgpr_count 6
		.amdhsa_user_sgpr_private_segment_buffer 1
		.amdhsa_user_sgpr_dispatch_ptr 0
		.amdhsa_user_sgpr_queue_ptr 0
		.amdhsa_user_sgpr_kernarg_segment_ptr 1
		.amdhsa_user_sgpr_dispatch_id 0
		.amdhsa_user_sgpr_flat_scratch_init 0
		.amdhsa_user_sgpr_private_segment_size 0
		.amdhsa_uses_dynamic_stack 0
		.amdhsa_system_sgpr_private_segment_wavefront_offset 0
		.amdhsa_system_sgpr_workgroup_id_x 1
		.amdhsa_system_sgpr_workgroup_id_y 0
		.amdhsa_system_sgpr_workgroup_id_z 0
		.amdhsa_system_sgpr_workgroup_info 0
		.amdhsa_system_vgpr_workitem_id 0
		.amdhsa_next_free_vgpr 17
		.amdhsa_next_free_sgpr 18
		.amdhsa_reserve_vcc 1
		.amdhsa_reserve_flat_scratch 0
		.amdhsa_float_round_mode_32 0
		.amdhsa_float_round_mode_16_64 0
		.amdhsa_float_denorm_mode_32 3
		.amdhsa_float_denorm_mode_16_64 3
		.amdhsa_dx10_clamp 1
		.amdhsa_ieee_mode 1
		.amdhsa_fp16_overflow 0
		.amdhsa_exception_fp_ieee_invalid_op 0
		.amdhsa_exception_fp_denorm_src 0
		.amdhsa_exception_fp_ieee_div_zero 0
		.amdhsa_exception_fp_ieee_overflow 0
		.amdhsa_exception_fp_ieee_underflow 0
		.amdhsa_exception_fp_ieee_inexact 0
		.amdhsa_exception_int_div_zero 0
	.end_amdhsa_kernel
	.section	.text._ZN9rocsparseL22gebsrmvn_mxn_16_kernelILj60ELj10ELj2EdEEvi20rocsparse_direction_NS_24const_host_device_scalarIT2_EEPKiS6_PKS3_iiS8_S4_PS3_21rocsparse_index_base_b,"axG",@progbits,_ZN9rocsparseL22gebsrmvn_mxn_16_kernelILj60ELj10ELj2EdEEvi20rocsparse_direction_NS_24const_host_device_scalarIT2_EEPKiS6_PKS3_iiS8_S4_PS3_21rocsparse_index_base_b,comdat
.Lfunc_end45:
	.size	_ZN9rocsparseL22gebsrmvn_mxn_16_kernelILj60ELj10ELj2EdEEvi20rocsparse_direction_NS_24const_host_device_scalarIT2_EEPKiS6_PKS3_iiS8_S4_PS3_21rocsparse_index_base_b, .Lfunc_end45-_ZN9rocsparseL22gebsrmvn_mxn_16_kernelILj60ELj10ELj2EdEEvi20rocsparse_direction_NS_24const_host_device_scalarIT2_EEPKiS6_PKS3_iiS8_S4_PS3_21rocsparse_index_base_b
                                        ; -- End function
	.set _ZN9rocsparseL22gebsrmvn_mxn_16_kernelILj60ELj10ELj2EdEEvi20rocsparse_direction_NS_24const_host_device_scalarIT2_EEPKiS6_PKS3_iiS8_S4_PS3_21rocsparse_index_base_b.num_vgpr, 17
	.set _ZN9rocsparseL22gebsrmvn_mxn_16_kernelILj60ELj10ELj2EdEEvi20rocsparse_direction_NS_24const_host_device_scalarIT2_EEPKiS6_PKS3_iiS8_S4_PS3_21rocsparse_index_base_b.num_agpr, 0
	.set _ZN9rocsparseL22gebsrmvn_mxn_16_kernelILj60ELj10ELj2EdEEvi20rocsparse_direction_NS_24const_host_device_scalarIT2_EEPKiS6_PKS3_iiS8_S4_PS3_21rocsparse_index_base_b.numbered_sgpr, 18
	.set _ZN9rocsparseL22gebsrmvn_mxn_16_kernelILj60ELj10ELj2EdEEvi20rocsparse_direction_NS_24const_host_device_scalarIT2_EEPKiS6_PKS3_iiS8_S4_PS3_21rocsparse_index_base_b.num_named_barrier, 0
	.set _ZN9rocsparseL22gebsrmvn_mxn_16_kernelILj60ELj10ELj2EdEEvi20rocsparse_direction_NS_24const_host_device_scalarIT2_EEPKiS6_PKS3_iiS8_S4_PS3_21rocsparse_index_base_b.private_seg_size, 0
	.set _ZN9rocsparseL22gebsrmvn_mxn_16_kernelILj60ELj10ELj2EdEEvi20rocsparse_direction_NS_24const_host_device_scalarIT2_EEPKiS6_PKS3_iiS8_S4_PS3_21rocsparse_index_base_b.uses_vcc, 1
	.set _ZN9rocsparseL22gebsrmvn_mxn_16_kernelILj60ELj10ELj2EdEEvi20rocsparse_direction_NS_24const_host_device_scalarIT2_EEPKiS6_PKS3_iiS8_S4_PS3_21rocsparse_index_base_b.uses_flat_scratch, 0
	.set _ZN9rocsparseL22gebsrmvn_mxn_16_kernelILj60ELj10ELj2EdEEvi20rocsparse_direction_NS_24const_host_device_scalarIT2_EEPKiS6_PKS3_iiS8_S4_PS3_21rocsparse_index_base_b.has_dyn_sized_stack, 0
	.set _ZN9rocsparseL22gebsrmvn_mxn_16_kernelILj60ELj10ELj2EdEEvi20rocsparse_direction_NS_24const_host_device_scalarIT2_EEPKiS6_PKS3_iiS8_S4_PS3_21rocsparse_index_base_b.has_recursion, 0
	.set _ZN9rocsparseL22gebsrmvn_mxn_16_kernelILj60ELj10ELj2EdEEvi20rocsparse_direction_NS_24const_host_device_scalarIT2_EEPKiS6_PKS3_iiS8_S4_PS3_21rocsparse_index_base_b.has_indirect_call, 0
	.section	.AMDGPU.csdata,"",@progbits
; Kernel info:
; codeLenInByte = 924
; TotalNumSgprs: 22
; NumVgprs: 17
; ScratchSize: 0
; MemoryBound: 0
; FloatMode: 240
; IeeeMode: 1
; LDSByteSize: 480 bytes/workgroup (compile time only)
; SGPRBlocks: 2
; VGPRBlocks: 4
; NumSGPRsForWavesPerEU: 22
; NumVGPRsForWavesPerEU: 17
; Occupancy: 10
; WaveLimiterHint : 1
; COMPUTE_PGM_RSRC2:SCRATCH_EN: 0
; COMPUTE_PGM_RSRC2:USER_SGPR: 6
; COMPUTE_PGM_RSRC2:TRAP_HANDLER: 0
; COMPUTE_PGM_RSRC2:TGID_X_EN: 1
; COMPUTE_PGM_RSRC2:TGID_Y_EN: 0
; COMPUTE_PGM_RSRC2:TGID_Z_EN: 0
; COMPUTE_PGM_RSRC2:TIDIG_COMP_CNT: 0
	.section	.text._ZN9rocsparseL22gebsrmvn_mxn_16_kernelILj60ELj10ELj3EdEEvi20rocsparse_direction_NS_24const_host_device_scalarIT2_EEPKiS6_PKS3_iiS8_S4_PS3_21rocsparse_index_base_b,"axG",@progbits,_ZN9rocsparseL22gebsrmvn_mxn_16_kernelILj60ELj10ELj3EdEEvi20rocsparse_direction_NS_24const_host_device_scalarIT2_EEPKiS6_PKS3_iiS8_S4_PS3_21rocsparse_index_base_b,comdat
	.globl	_ZN9rocsparseL22gebsrmvn_mxn_16_kernelILj60ELj10ELj3EdEEvi20rocsparse_direction_NS_24const_host_device_scalarIT2_EEPKiS6_PKS3_iiS8_S4_PS3_21rocsparse_index_base_b ; -- Begin function _ZN9rocsparseL22gebsrmvn_mxn_16_kernelILj60ELj10ELj3EdEEvi20rocsparse_direction_NS_24const_host_device_scalarIT2_EEPKiS6_PKS3_iiS8_S4_PS3_21rocsparse_index_base_b
	.p2align	8
	.type	_ZN9rocsparseL22gebsrmvn_mxn_16_kernelILj60ELj10ELj3EdEEvi20rocsparse_direction_NS_24const_host_device_scalarIT2_EEPKiS6_PKS3_iiS8_S4_PS3_21rocsparse_index_base_b,@function
_ZN9rocsparseL22gebsrmvn_mxn_16_kernelILj60ELj10ELj3EdEEvi20rocsparse_direction_NS_24const_host_device_scalarIT2_EEPKiS6_PKS3_iiS8_S4_PS3_21rocsparse_index_base_b: ; @_ZN9rocsparseL22gebsrmvn_mxn_16_kernelILj60ELj10ELj3EdEEvi20rocsparse_direction_NS_24const_host_device_scalarIT2_EEPKiS6_PKS3_iiS8_S4_PS3_21rocsparse_index_base_b
; %bb.0:
	s_load_dwordx2 s[10:11], s[4:5], 0x48
	s_load_dwordx2 s[8:9], s[4:5], 0x8
	;; [unrolled: 1-line block ×3, first 2 shown]
	s_waitcnt lgkmcnt(0)
	s_bitcmp1_b32 s11, 0
	s_cselect_b64 s[12:13], -1, 0
	v_mov_b32_e32 v3, s8
	s_xor_b64 s[2:3], s[12:13], -1
	s_and_b64 vcc, exec, s[12:13]
	v_mov_b32_e32 v4, s9
	s_cbranch_vccnz .LBB46_2
; %bb.1:
	v_mov_b32_e32 v1, s8
	v_mov_b32_e32 v2, s9
	flat_load_dwordx2 v[3:4], v[1:2]
.LBB46_2:
	v_mov_b32_e32 v2, s1
	s_andn2_b64 vcc, exec, s[2:3]
	v_mov_b32_e32 v1, s0
	s_cbranch_vccnz .LBB46_4
; %bb.3:
	v_mov_b32_e32 v2, s1
	v_mov_b32_e32 v1, s0
	flat_load_dwordx2 v[1:2], v[1:2]
.LBB46_4:
	s_waitcnt vmcnt(0) lgkmcnt(0)
	v_cmp_neq_f64_e32 vcc, 0, v[3:4]
	v_cmp_neq_f64_e64 s[0:1], 1.0, v[1:2]
	s_or_b64 s[0:1], vcc, s[0:1]
	s_and_saveexec_b64 s[2:3], s[0:1]
	s_cbranch_execz .LBB46_35
; %bb.5:
	s_load_dwordx2 s[0:1], s[4:5], 0x10
	s_load_dword s2, s[4:5], 0x4
	v_mul_u32_u24_e32 v6, 0x5556, v0
	v_mov_b32_e32 v5, 3
	v_mul_lo_u16_sdwa v6, v6, v5 dst_sel:DWORD dst_unused:UNUSED_PAD src0_sel:WORD_1 src1_sel:DWORD
	v_sub_u16_e32 v12, v0, v6
	s_waitcnt lgkmcnt(0)
	s_cmp_lg_u32 s2, 1
	s_cselect_b64 s[12:13], -1, 0
	s_and_b64 vcc, exec, s[12:13]
	v_mov_b32_e32 v7, v12
	s_cbranch_vccnz .LBB46_7
; %bb.6:
	s_movk_i32 s2, 0x199a
	v_mul_u32_u24_sdwa v6, v0, s2 dst_sel:DWORD dst_unused:UNUSED_PAD src0_sel:WORD_0 src1_sel:DWORD
	s_movk_i32 s2, 0x56
	v_mul_lo_u16_sdwa v7, v6, s2 dst_sel:DWORD dst_unused:UNUSED_PAD src0_sel:WORD_1 src1_sel:DWORD
	v_mul_lo_u16_sdwa v5, v7, v5 dst_sel:DWORD dst_unused:UNUSED_PAD src0_sel:BYTE_1 src1_sel:DWORD
	v_sub_u16_sdwa v5, v6, v5 dst_sel:DWORD dst_unused:UNUSED_PAD src0_sel:WORD_1 src1_sel:DWORD
	v_and_b32_e32 v7, 0xff, v5
.LBB46_7:
	s_ashr_i32 s7, s6, 31
	s_lshl_b64 s[2:3], s[6:7], 2
	s_add_u32 s0, s0, s2
	s_addc_u32 s1, s1, s3
	s_load_dwordx2 s[16:17], s[0:1], 0x0
	s_load_dwordx2 s[8:9], s[4:5], 0x40
	v_mov_b32_e32 v5, 0
	v_mov_b32_e32 v6, 0
	s_waitcnt lgkmcnt(0)
	s_cmp_ge_i32 s16, s17
	s_cbranch_scc1 .LBB46_12
; %bb.8:
	s_load_dwordx4 s[0:3], s[4:5], 0x18
	s_load_dwordx2 s[14:15], s[4:5], 0x30
	v_mad_u64_u32 v[5:6], s[4:5], s16, 30, v[0:1]
	s_movk_i32 s4, 0x889
	v_mul_u32_u24_sdwa v13, v0, s4 dst_sel:DWORD dst_unused:UNUSED_PAD src0_sel:WORD_0 src1_sel:DWORD
	s_mul_i32 s4, s10, 30
	v_subrev_u32_e32 v8, s4, v5
	v_mov_b32_e32 v5, 0
	s_sub_i32 s7, s17, s10
	s_sub_i32 s11, s16, s10
	v_mov_b32_e32 v6, 0
	v_mov_b32_e32 v9, 0
	s_branch .LBB46_10
.LBB46_9:                               ;   in Loop: Header=BB46_10 Depth=1
	s_or_b64 exec, exec, s[4:5]
	s_add_i32 s11, s11, 2
	s_cmp_ge_i32 s11, s7
	v_add_u32_e32 v8, 60, v8
	s_cbranch_scc1 .LBB46_12
.LBB46_10:                              ; =>This Inner Loop Header: Depth=1
	v_add_u32_sdwa v10, v13, s11 dst_sel:DWORD dst_unused:UNUSED_PAD src0_sel:WORD_1 src1_sel:DWORD
	v_cmp_gt_i32_e32 vcc, s7, v10
	s_and_saveexec_b64 s[4:5], vcc
	s_cbranch_execz .LBB46_9
; %bb.11:                               ;   in Loop: Header=BB46_10 Depth=1
	v_ashrrev_i32_e32 v11, 31, v10
	v_lshlrev_b64 v[10:11], 2, v[10:11]
	s_waitcnt lgkmcnt(0)
	v_mov_b32_e32 v14, s1
	v_add_co_u32_e32 v10, vcc, s0, v10
	v_addc_co_u32_e32 v11, vcc, v14, v11, vcc
	global_load_dword v14, v[10:11], off
	v_lshlrev_b64 v[10:11], 3, v[8:9]
	v_mov_b32_e32 v16, s3
	v_add_co_u32_e32 v10, vcc, s2, v10
	v_addc_co_u32_e32 v11, vcc, v16, v11, vcc
	v_mov_b32_e32 v17, s15
	global_load_dwordx2 v[10:11], v[10:11], off
	s_waitcnt vmcnt(1)
	v_subrev_u32_e32 v14, s10, v14
	v_mad_u64_u32 v[14:15], s[16:17], v14, 3, v[7:8]
	v_ashrrev_i32_e32 v15, 31, v14
	v_lshlrev_b64 v[14:15], 3, v[14:15]
	v_add_co_u32_e32 v14, vcc, s14, v14
	v_addc_co_u32_e32 v15, vcc, v17, v15, vcc
	global_load_dwordx2 v[14:15], v[14:15], off
	s_waitcnt vmcnt(0)
	v_fma_f64 v[5:6], v[10:11], v[14:15], v[5:6]
	s_branch .LBB46_9
.LBB46_12:
	v_lshlrev_b32_e32 v9, 3, v0
	v_cmp_gt_u32_e32 vcc, 30, v0
	ds_write_b64 v9, v[5:6]
	s_waitcnt lgkmcnt(0)
	; wave barrier
	s_and_saveexec_b64 s[0:1], vcc
	s_cbranch_execz .LBB46_14
; %bb.13:
	ds_read2_b64 v[13:16], v9 offset1:30
	s_waitcnt lgkmcnt(0)
	v_add_f64 v[7:8], v[15:16], v[13:14]
	ds_write_b64 v9, v[7:8]
.LBB46_14:
	s_or_b64 exec, exec, s[0:1]
	s_and_b64 vcc, exec, s[12:13]
	s_waitcnt lgkmcnt(0)
	; wave barrier
	s_cbranch_vccz .LBB46_22
; %bb.15:
	v_cmp_eq_u16_e32 vcc, 0, v12
	s_and_saveexec_b64 s[0:1], vcc
	s_cbranch_execz .LBB46_17
; %bb.16:
	ds_read2_b64 v[10:13], v9 offset1:2
	s_waitcnt lgkmcnt(0)
	v_add_f64 v[7:8], v[12:13], v[10:11]
	ds_write_b64 v9, v[7:8]
.LBB46_17:
	s_or_b64 exec, exec, s[0:1]
	s_waitcnt lgkmcnt(0)
	; wave barrier
	s_and_saveexec_b64 s[0:1], vcc
	s_cbranch_execz .LBB46_19
; %bb.18:
	ds_read2_b64 v[10:13], v9 offset1:1
	s_waitcnt lgkmcnt(0)
	v_add_f64 v[7:8], v[12:13], v[10:11]
	ds_write_b64 v9, v[7:8]
.LBB46_19:
	s_or_b64 exec, exec, s[0:1]
	v_mov_b32_e32 v8, v6
	v_cmp_gt_u32_e32 vcc, 10, v0
	v_mov_b32_e32 v7, v5
	s_waitcnt lgkmcnt(0)
	; wave barrier
	s_and_saveexec_b64 s[0:1], vcc
; %bb.20:
	v_lshl_add_u32 v7, v0, 4, v9
	ds_read_b64 v[7:8], v7
; %bb.21:
	s_or_b64 exec, exec, s[0:1]
	v_cmp_gt_u32_e64 s[0:1], 10, v0
	s_branch .LBB46_30
.LBB46_22:
                                        ; implicit-def: $vgpr7_vgpr8
	v_cmp_gt_u32_e64 s[0:1], 10, v0
	s_cbranch_execz .LBB46_30
; %bb.23:
	v_cmp_lt_u32_e32 vcc, 9, v0
	s_and_saveexec_b64 s[2:3], s[0:1]
	s_cbranch_execz .LBB46_25
; %bb.24:
	ds_read2_b64 v[10:13], v9 offset1:20
	s_waitcnt lgkmcnt(0)
	v_add_f64 v[7:8], v[12:13], v[10:11]
	ds_write_b64 v9, v[7:8]
.LBB46_25:
	s_or_b64 exec, exec, s[2:3]
	s_waitcnt lgkmcnt(0)
	; wave barrier
	s_and_saveexec_b64 s[0:1], vcc
	s_xor_b64 s[0:1], exec, s[0:1]
; %bb.26:
                                        ; implicit-def: $vgpr9
; %bb.27:
	s_andn2_saveexec_b64 s[0:1], s[0:1]
	s_cbranch_execz .LBB46_29
; %bb.28:
	ds_read2_b64 v[5:8], v9 offset1:10
	s_waitcnt lgkmcnt(0)
	v_add_f64 v[5:6], v[7:8], v[5:6]
	ds_write_b64 v9, v[5:6]
	s_waitcnt lgkmcnt(0)
	ds_read_b64 v[5:6], v9
.LBB46_29:
	s_or_b64 exec, exec, s[0:1]
	s_waitcnt lgkmcnt(0)
	v_mov_b32_e32 v8, v6
	v_mov_b32_e32 v7, v5
.LBB46_30:
	v_cmp_gt_u32_e32 vcc, 10, v0
	s_and_b64 exec, exec, vcc
	s_cbranch_execz .LBB46_35
; %bb.31:
	v_cmp_eq_f64_e32 vcc, 0, v[1:2]
	s_waitcnt lgkmcnt(0)
	v_mul_f64 v[3:4], v[3:4], v[7:8]
	s_and_saveexec_b64 s[0:1], vcc
	s_xor_b64 s[0:1], exec, s[0:1]
	s_cbranch_execz .LBB46_33
; %bb.32:
	v_mad_u64_u32 v[0:1], s[2:3], s6, 10, v[0:1]
	v_mov_b32_e32 v1, 0
	v_mov_b32_e32 v2, s9
	v_lshlrev_b64 v[0:1], 3, v[0:1]
	v_add_co_u32_e32 v0, vcc, s8, v0
	v_addc_co_u32_e32 v1, vcc, v2, v1, vcc
	global_store_dwordx2 v[0:1], v[3:4], off
                                        ; implicit-def: $vgpr0
                                        ; implicit-def: $vgpr1_vgpr2
                                        ; implicit-def: $vgpr3_vgpr4
.LBB46_33:
	s_andn2_saveexec_b64 s[0:1], s[0:1]
	s_cbranch_execz .LBB46_35
; %bb.34:
	v_mad_u64_u32 v[5:6], s[0:1], s6, 10, v[0:1]
	v_mov_b32_e32 v6, 0
	v_mov_b32_e32 v0, s9
	v_lshlrev_b64 v[5:6], 3, v[5:6]
	v_add_co_u32_e32 v5, vcc, s8, v5
	v_addc_co_u32_e32 v6, vcc, v0, v6, vcc
	global_load_dwordx2 v[7:8], v[5:6], off
	s_waitcnt vmcnt(0)
	v_fma_f64 v[0:1], v[1:2], v[7:8], v[3:4]
	global_store_dwordx2 v[5:6], v[0:1], off
.LBB46_35:
	s_endpgm
	.section	.rodata,"a",@progbits
	.p2align	6, 0x0
	.amdhsa_kernel _ZN9rocsparseL22gebsrmvn_mxn_16_kernelILj60ELj10ELj3EdEEvi20rocsparse_direction_NS_24const_host_device_scalarIT2_EEPKiS6_PKS3_iiS8_S4_PS3_21rocsparse_index_base_b
		.amdhsa_group_segment_fixed_size 480
		.amdhsa_private_segment_fixed_size 0
		.amdhsa_kernarg_size 80
		.amdhsa_user_sgpr_count 6
		.amdhsa_user_sgpr_private_segment_buffer 1
		.amdhsa_user_sgpr_dispatch_ptr 0
		.amdhsa_user_sgpr_queue_ptr 0
		.amdhsa_user_sgpr_kernarg_segment_ptr 1
		.amdhsa_user_sgpr_dispatch_id 0
		.amdhsa_user_sgpr_flat_scratch_init 0
		.amdhsa_user_sgpr_private_segment_size 0
		.amdhsa_uses_dynamic_stack 0
		.amdhsa_system_sgpr_private_segment_wavefront_offset 0
		.amdhsa_system_sgpr_workgroup_id_x 1
		.amdhsa_system_sgpr_workgroup_id_y 0
		.amdhsa_system_sgpr_workgroup_id_z 0
		.amdhsa_system_sgpr_workgroup_info 0
		.amdhsa_system_vgpr_workitem_id 0
		.amdhsa_next_free_vgpr 18
		.amdhsa_next_free_sgpr 18
		.amdhsa_reserve_vcc 1
		.amdhsa_reserve_flat_scratch 0
		.amdhsa_float_round_mode_32 0
		.amdhsa_float_round_mode_16_64 0
		.amdhsa_float_denorm_mode_32 3
		.amdhsa_float_denorm_mode_16_64 3
		.amdhsa_dx10_clamp 1
		.amdhsa_ieee_mode 1
		.amdhsa_fp16_overflow 0
		.amdhsa_exception_fp_ieee_invalid_op 0
		.amdhsa_exception_fp_denorm_src 0
		.amdhsa_exception_fp_ieee_div_zero 0
		.amdhsa_exception_fp_ieee_overflow 0
		.amdhsa_exception_fp_ieee_underflow 0
		.amdhsa_exception_fp_ieee_inexact 0
		.amdhsa_exception_int_div_zero 0
	.end_amdhsa_kernel
	.section	.text._ZN9rocsparseL22gebsrmvn_mxn_16_kernelILj60ELj10ELj3EdEEvi20rocsparse_direction_NS_24const_host_device_scalarIT2_EEPKiS6_PKS3_iiS8_S4_PS3_21rocsparse_index_base_b,"axG",@progbits,_ZN9rocsparseL22gebsrmvn_mxn_16_kernelILj60ELj10ELj3EdEEvi20rocsparse_direction_NS_24const_host_device_scalarIT2_EEPKiS6_PKS3_iiS8_S4_PS3_21rocsparse_index_base_b,comdat
.Lfunc_end46:
	.size	_ZN9rocsparseL22gebsrmvn_mxn_16_kernelILj60ELj10ELj3EdEEvi20rocsparse_direction_NS_24const_host_device_scalarIT2_EEPKiS6_PKS3_iiS8_S4_PS3_21rocsparse_index_base_b, .Lfunc_end46-_ZN9rocsparseL22gebsrmvn_mxn_16_kernelILj60ELj10ELj3EdEEvi20rocsparse_direction_NS_24const_host_device_scalarIT2_EEPKiS6_PKS3_iiS8_S4_PS3_21rocsparse_index_base_b
                                        ; -- End function
	.set _ZN9rocsparseL22gebsrmvn_mxn_16_kernelILj60ELj10ELj3EdEEvi20rocsparse_direction_NS_24const_host_device_scalarIT2_EEPKiS6_PKS3_iiS8_S4_PS3_21rocsparse_index_base_b.num_vgpr, 18
	.set _ZN9rocsparseL22gebsrmvn_mxn_16_kernelILj60ELj10ELj3EdEEvi20rocsparse_direction_NS_24const_host_device_scalarIT2_EEPKiS6_PKS3_iiS8_S4_PS3_21rocsparse_index_base_b.num_agpr, 0
	.set _ZN9rocsparseL22gebsrmvn_mxn_16_kernelILj60ELj10ELj3EdEEvi20rocsparse_direction_NS_24const_host_device_scalarIT2_EEPKiS6_PKS3_iiS8_S4_PS3_21rocsparse_index_base_b.numbered_sgpr, 18
	.set _ZN9rocsparseL22gebsrmvn_mxn_16_kernelILj60ELj10ELj3EdEEvi20rocsparse_direction_NS_24const_host_device_scalarIT2_EEPKiS6_PKS3_iiS8_S4_PS3_21rocsparse_index_base_b.num_named_barrier, 0
	.set _ZN9rocsparseL22gebsrmvn_mxn_16_kernelILj60ELj10ELj3EdEEvi20rocsparse_direction_NS_24const_host_device_scalarIT2_EEPKiS6_PKS3_iiS8_S4_PS3_21rocsparse_index_base_b.private_seg_size, 0
	.set _ZN9rocsparseL22gebsrmvn_mxn_16_kernelILj60ELj10ELj3EdEEvi20rocsparse_direction_NS_24const_host_device_scalarIT2_EEPKiS6_PKS3_iiS8_S4_PS3_21rocsparse_index_base_b.uses_vcc, 1
	.set _ZN9rocsparseL22gebsrmvn_mxn_16_kernelILj60ELj10ELj3EdEEvi20rocsparse_direction_NS_24const_host_device_scalarIT2_EEPKiS6_PKS3_iiS8_S4_PS3_21rocsparse_index_base_b.uses_flat_scratch, 0
	.set _ZN9rocsparseL22gebsrmvn_mxn_16_kernelILj60ELj10ELj3EdEEvi20rocsparse_direction_NS_24const_host_device_scalarIT2_EEPKiS6_PKS3_iiS8_S4_PS3_21rocsparse_index_base_b.has_dyn_sized_stack, 0
	.set _ZN9rocsparseL22gebsrmvn_mxn_16_kernelILj60ELj10ELj3EdEEvi20rocsparse_direction_NS_24const_host_device_scalarIT2_EEPKiS6_PKS3_iiS8_S4_PS3_21rocsparse_index_base_b.has_recursion, 0
	.set _ZN9rocsparseL22gebsrmvn_mxn_16_kernelILj60ELj10ELj3EdEEvi20rocsparse_direction_NS_24const_host_device_scalarIT2_EEPKiS6_PKS3_iiS8_S4_PS3_21rocsparse_index_base_b.has_indirect_call, 0
	.section	.AMDGPU.csdata,"",@progbits
; Kernel info:
; codeLenInByte = 1028
; TotalNumSgprs: 22
; NumVgprs: 18
; ScratchSize: 0
; MemoryBound: 0
; FloatMode: 240
; IeeeMode: 1
; LDSByteSize: 480 bytes/workgroup (compile time only)
; SGPRBlocks: 2
; VGPRBlocks: 4
; NumSGPRsForWavesPerEU: 22
; NumVGPRsForWavesPerEU: 18
; Occupancy: 10
; WaveLimiterHint : 1
; COMPUTE_PGM_RSRC2:SCRATCH_EN: 0
; COMPUTE_PGM_RSRC2:USER_SGPR: 6
; COMPUTE_PGM_RSRC2:TRAP_HANDLER: 0
; COMPUTE_PGM_RSRC2:TGID_X_EN: 1
; COMPUTE_PGM_RSRC2:TGID_Y_EN: 0
; COMPUTE_PGM_RSRC2:TGID_Z_EN: 0
; COMPUTE_PGM_RSRC2:TIDIG_COMP_CNT: 0
	.section	.text._ZN9rocsparseL22gebsrmvn_mxn_16_kernelILj40ELj10ELj4EdEEvi20rocsparse_direction_NS_24const_host_device_scalarIT2_EEPKiS6_PKS3_iiS8_S4_PS3_21rocsparse_index_base_b,"axG",@progbits,_ZN9rocsparseL22gebsrmvn_mxn_16_kernelILj40ELj10ELj4EdEEvi20rocsparse_direction_NS_24const_host_device_scalarIT2_EEPKiS6_PKS3_iiS8_S4_PS3_21rocsparse_index_base_b,comdat
	.globl	_ZN9rocsparseL22gebsrmvn_mxn_16_kernelILj40ELj10ELj4EdEEvi20rocsparse_direction_NS_24const_host_device_scalarIT2_EEPKiS6_PKS3_iiS8_S4_PS3_21rocsparse_index_base_b ; -- Begin function _ZN9rocsparseL22gebsrmvn_mxn_16_kernelILj40ELj10ELj4EdEEvi20rocsparse_direction_NS_24const_host_device_scalarIT2_EEPKiS6_PKS3_iiS8_S4_PS3_21rocsparse_index_base_b
	.p2align	8
	.type	_ZN9rocsparseL22gebsrmvn_mxn_16_kernelILj40ELj10ELj4EdEEvi20rocsparse_direction_NS_24const_host_device_scalarIT2_EEPKiS6_PKS3_iiS8_S4_PS3_21rocsparse_index_base_b,@function
_ZN9rocsparseL22gebsrmvn_mxn_16_kernelILj40ELj10ELj4EdEEvi20rocsparse_direction_NS_24const_host_device_scalarIT2_EEPKiS6_PKS3_iiS8_S4_PS3_21rocsparse_index_base_b: ; @_ZN9rocsparseL22gebsrmvn_mxn_16_kernelILj40ELj10ELj4EdEEvi20rocsparse_direction_NS_24const_host_device_scalarIT2_EEPKiS6_PKS3_iiS8_S4_PS3_21rocsparse_index_base_b
; %bb.0:
	s_load_dwordx2 s[10:11], s[4:5], 0x48
	s_load_dwordx2 s[8:9], s[4:5], 0x8
	;; [unrolled: 1-line block ×3, first 2 shown]
	s_waitcnt lgkmcnt(0)
	s_bitcmp1_b32 s11, 0
	s_cselect_b64 s[12:13], -1, 0
	v_mov_b32_e32 v3, s8
	s_xor_b64 s[2:3], s[12:13], -1
	s_and_b64 vcc, exec, s[12:13]
	v_mov_b32_e32 v4, s9
	s_cbranch_vccnz .LBB47_2
; %bb.1:
	v_mov_b32_e32 v1, s8
	v_mov_b32_e32 v2, s9
	flat_load_dwordx2 v[3:4], v[1:2]
.LBB47_2:
	v_mov_b32_e32 v2, s1
	s_andn2_b64 vcc, exec, s[2:3]
	v_mov_b32_e32 v1, s0
	s_cbranch_vccnz .LBB47_4
; %bb.3:
	v_mov_b32_e32 v2, s1
	v_mov_b32_e32 v1, s0
	flat_load_dwordx2 v[1:2], v[1:2]
.LBB47_4:
	s_waitcnt vmcnt(0) lgkmcnt(0)
	v_cmp_neq_f64_e32 vcc, 0, v[3:4]
	v_cmp_neq_f64_e64 s[0:1], 1.0, v[1:2]
	s_or_b64 s[0:1], vcc, s[0:1]
	s_and_saveexec_b64 s[2:3], s[0:1]
	s_cbranch_execz .LBB47_33
; %bb.5:
	s_load_dword s2, s[4:5], 0x4
	s_load_dwordx2 s[0:1], s[4:5], 0x10
	v_and_b32_e32 v11, 3, v0
	v_mov_b32_e32 v12, v11
	s_waitcnt lgkmcnt(0)
	s_cmp_lg_u32 s2, 1
	s_cselect_b64 s[12:13], -1, 0
	s_and_b64 vcc, exec, s[12:13]
	s_cbranch_vccnz .LBB47_7
; %bb.6:
	v_mul_u32_u24_e32 v5, 0x199a, v0
	v_bfe_u32 v12, v5, 16, 2
.LBB47_7:
	s_ashr_i32 s7, s6, 31
	s_lshl_b64 s[2:3], s[6:7], 2
	s_add_u32 s0, s0, s2
	s_addc_u32 s1, s1, s3
	s_load_dwordx2 s[16:17], s[0:1], 0x0
	s_load_dwordx2 s[8:9], s[4:5], 0x40
	v_mov_b32_e32 v5, 0
	v_mov_b32_e32 v6, 0
	s_waitcnt lgkmcnt(0)
	s_cmp_ge_i32 s16, s17
	s_cbranch_scc1 .LBB47_12
; %bb.8:
	s_load_dwordx4 s[0:3], s[4:5], 0x18
	s_load_dwordx2 s[14:15], s[4:5], 0x30
	v_mad_u64_u32 v[5:6], s[4:5], s16, 40, v[0:1]
	s_mul_i32 s4, s10, 40
	s_sub_i32 s7, s17, s10
	v_subrev_u32_e32 v7, s4, v5
	v_mov_b32_e32 v5, 0
	s_sub_i32 s11, s16, s10
	v_mul_u32_u24_e32 v13, 0x667, v0
	v_mov_b32_e32 v6, 0
	v_mov_b32_e32 v8, 0
	s_branch .LBB47_10
.LBB47_9:                               ;   in Loop: Header=BB47_10 Depth=1
	s_or_b64 exec, exec, s[4:5]
	s_add_i32 s11, s11, 1
	s_cmp_ge_i32 s11, s7
	v_add_u32_e32 v7, 40, v7
	s_cbranch_scc1 .LBB47_12
.LBB47_10:                              ; =>This Inner Loop Header: Depth=1
	v_add_u32_sdwa v9, v13, s11 dst_sel:DWORD dst_unused:UNUSED_PAD src0_sel:WORD_1 src1_sel:DWORD
	v_cmp_gt_i32_e32 vcc, s7, v9
	s_and_saveexec_b64 s[4:5], vcc
	s_cbranch_execz .LBB47_9
; %bb.11:                               ;   in Loop: Header=BB47_10 Depth=1
	v_ashrrev_i32_e32 v10, 31, v9
	v_lshlrev_b64 v[9:10], 2, v[9:10]
	s_waitcnt lgkmcnt(0)
	v_mov_b32_e32 v14, s1
	v_add_co_u32_e32 v9, vcc, s0, v9
	v_addc_co_u32_e32 v10, vcc, v14, v10, vcc
	global_load_dword v14, v[9:10], off
	v_lshlrev_b64 v[9:10], 3, v[7:8]
	v_mov_b32_e32 v15, s3
	v_add_co_u32_e32 v9, vcc, s2, v9
	v_addc_co_u32_e32 v10, vcc, v15, v10, vcc
	v_mov_b32_e32 v16, s15
	global_load_dwordx2 v[9:10], v[9:10], off
	s_waitcnt vmcnt(1)
	v_subrev_u32_e32 v14, s10, v14
	v_lshl_or_b32 v14, v14, 2, v12
	v_ashrrev_i32_e32 v15, 31, v14
	v_lshlrev_b64 v[14:15], 3, v[14:15]
	v_add_co_u32_e32 v14, vcc, s14, v14
	v_addc_co_u32_e32 v15, vcc, v16, v15, vcc
	global_load_dwordx2 v[14:15], v[14:15], off
	s_waitcnt vmcnt(0)
	v_fma_f64 v[5:6], v[9:10], v[14:15], v[5:6]
	s_branch .LBB47_9
.LBB47_12:
	v_lshlrev_b32_e32 v9, 3, v0
	s_and_b64 vcc, exec, s[12:13]
	ds_write_b64 v9, v[5:6]
	s_waitcnt lgkmcnt(0)
	; wave barrier
	s_cbranch_vccz .LBB47_20
; %bb.13:
	v_cmp_gt_u32_e32 vcc, 2, v11
	s_and_saveexec_b64 s[0:1], vcc
	s_cbranch_execz .LBB47_15
; %bb.14:
	ds_read2_b64 v[12:15], v9 offset1:2
	s_waitcnt lgkmcnt(0)
	v_add_f64 v[7:8], v[14:15], v[12:13]
	ds_write_b64 v9, v[7:8]
.LBB47_15:
	s_or_b64 exec, exec, s[0:1]
	v_cmp_eq_u32_e32 vcc, 0, v11
	s_waitcnt lgkmcnt(0)
	; wave barrier
	s_and_saveexec_b64 s[0:1], vcc
	s_cbranch_execz .LBB47_17
; %bb.16:
	ds_read2_b64 v[10:13], v9 offset1:1
	s_waitcnt lgkmcnt(0)
	v_add_f64 v[7:8], v[12:13], v[10:11]
	ds_write_b64 v9, v[7:8]
.LBB47_17:
	s_or_b64 exec, exec, s[0:1]
	v_mov_b32_e32 v8, v6
	v_cmp_gt_u32_e32 vcc, 10, v0
	v_mov_b32_e32 v7, v5
	s_waitcnt lgkmcnt(0)
	; wave barrier
	s_and_saveexec_b64 s[0:1], vcc
; %bb.18:
	v_mad_u32_u24 v7, v0, 24, v9
	ds_read_b64 v[7:8], v7
; %bb.19:
	s_or_b64 exec, exec, s[0:1]
	s_branch .LBB47_28
.LBB47_20:
                                        ; implicit-def: $vgpr7_vgpr8
	s_cbranch_execz .LBB47_28
; %bb.21:
	v_cmp_gt_u32_e32 vcc, 20, v0
	s_and_saveexec_b64 s[0:1], vcc
	s_cbranch_execz .LBB47_23
; %bb.22:
	ds_read2_b64 v[10:13], v9 offset1:20
	s_waitcnt lgkmcnt(0)
	v_add_f64 v[7:8], v[12:13], v[10:11]
	ds_write_b64 v9, v[7:8]
.LBB47_23:
	s_or_b64 exec, exec, s[0:1]
	v_cmp_lt_u32_e32 vcc, 9, v0
	s_waitcnt lgkmcnt(0)
	s_and_saveexec_b64 s[0:1], vcc
	s_xor_b64 s[0:1], exec, s[0:1]
; %bb.24:
                                        ; implicit-def: $vgpr9
; %bb.25:
	s_andn2_saveexec_b64 s[0:1], s[0:1]
	s_cbranch_execz .LBB47_27
; %bb.26:
	ds_read2_b64 v[5:8], v9 offset1:10
	s_waitcnt lgkmcnt(0)
	v_add_f64 v[5:6], v[7:8], v[5:6]
	ds_write_b64 v9, v[5:6]
	s_waitcnt lgkmcnt(0)
	ds_read_b64 v[5:6], v9
.LBB47_27:
	s_or_b64 exec, exec, s[0:1]
	s_waitcnt lgkmcnt(0)
	v_mov_b32_e32 v8, v6
	v_mov_b32_e32 v7, v5
.LBB47_28:
	v_cmp_gt_u32_e32 vcc, 10, v0
	s_and_b64 exec, exec, vcc
	s_cbranch_execz .LBB47_33
; %bb.29:
	v_cmp_eq_f64_e32 vcc, 0, v[1:2]
	s_waitcnt lgkmcnt(0)
	v_mul_f64 v[3:4], v[3:4], v[7:8]
	s_and_saveexec_b64 s[0:1], vcc
	s_xor_b64 s[0:1], exec, s[0:1]
	s_cbranch_execz .LBB47_31
; %bb.30:
	v_mad_u64_u32 v[0:1], s[2:3], s6, 10, v[0:1]
	v_mov_b32_e32 v1, 0
	v_mov_b32_e32 v2, s9
	v_lshlrev_b64 v[0:1], 3, v[0:1]
	v_add_co_u32_e32 v0, vcc, s8, v0
	v_addc_co_u32_e32 v1, vcc, v2, v1, vcc
	global_store_dwordx2 v[0:1], v[3:4], off
                                        ; implicit-def: $vgpr0
                                        ; implicit-def: $vgpr1_vgpr2
                                        ; implicit-def: $vgpr3_vgpr4
.LBB47_31:
	s_andn2_saveexec_b64 s[0:1], s[0:1]
	s_cbranch_execz .LBB47_33
; %bb.32:
	v_mad_u64_u32 v[5:6], s[0:1], s6, 10, v[0:1]
	v_mov_b32_e32 v6, 0
	v_mov_b32_e32 v0, s9
	v_lshlrev_b64 v[5:6], 3, v[5:6]
	v_add_co_u32_e32 v5, vcc, s8, v5
	v_addc_co_u32_e32 v6, vcc, v0, v6, vcc
	global_load_dwordx2 v[7:8], v[5:6], off
	s_waitcnt vmcnt(0)
	v_fma_f64 v[0:1], v[1:2], v[7:8], v[3:4]
	global_store_dwordx2 v[5:6], v[0:1], off
.LBB47_33:
	s_endpgm
	.section	.rodata,"a",@progbits
	.p2align	6, 0x0
	.amdhsa_kernel _ZN9rocsparseL22gebsrmvn_mxn_16_kernelILj40ELj10ELj4EdEEvi20rocsparse_direction_NS_24const_host_device_scalarIT2_EEPKiS6_PKS3_iiS8_S4_PS3_21rocsparse_index_base_b
		.amdhsa_group_segment_fixed_size 320
		.amdhsa_private_segment_fixed_size 0
		.amdhsa_kernarg_size 80
		.amdhsa_user_sgpr_count 6
		.amdhsa_user_sgpr_private_segment_buffer 1
		.amdhsa_user_sgpr_dispatch_ptr 0
		.amdhsa_user_sgpr_queue_ptr 0
		.amdhsa_user_sgpr_kernarg_segment_ptr 1
		.amdhsa_user_sgpr_dispatch_id 0
		.amdhsa_user_sgpr_flat_scratch_init 0
		.amdhsa_user_sgpr_private_segment_size 0
		.amdhsa_uses_dynamic_stack 0
		.amdhsa_system_sgpr_private_segment_wavefront_offset 0
		.amdhsa_system_sgpr_workgroup_id_x 1
		.amdhsa_system_sgpr_workgroup_id_y 0
		.amdhsa_system_sgpr_workgroup_id_z 0
		.amdhsa_system_sgpr_workgroup_info 0
		.amdhsa_system_vgpr_workitem_id 0
		.amdhsa_next_free_vgpr 17
		.amdhsa_next_free_sgpr 18
		.amdhsa_reserve_vcc 1
		.amdhsa_reserve_flat_scratch 0
		.amdhsa_float_round_mode_32 0
		.amdhsa_float_round_mode_16_64 0
		.amdhsa_float_denorm_mode_32 3
		.amdhsa_float_denorm_mode_16_64 3
		.amdhsa_dx10_clamp 1
		.amdhsa_ieee_mode 1
		.amdhsa_fp16_overflow 0
		.amdhsa_exception_fp_ieee_invalid_op 0
		.amdhsa_exception_fp_denorm_src 0
		.amdhsa_exception_fp_ieee_div_zero 0
		.amdhsa_exception_fp_ieee_overflow 0
		.amdhsa_exception_fp_ieee_underflow 0
		.amdhsa_exception_fp_ieee_inexact 0
		.amdhsa_exception_int_div_zero 0
	.end_amdhsa_kernel
	.section	.text._ZN9rocsparseL22gebsrmvn_mxn_16_kernelILj40ELj10ELj4EdEEvi20rocsparse_direction_NS_24const_host_device_scalarIT2_EEPKiS6_PKS3_iiS8_S4_PS3_21rocsparse_index_base_b,"axG",@progbits,_ZN9rocsparseL22gebsrmvn_mxn_16_kernelILj40ELj10ELj4EdEEvi20rocsparse_direction_NS_24const_host_device_scalarIT2_EEPKiS6_PKS3_iiS8_S4_PS3_21rocsparse_index_base_b,comdat
.Lfunc_end47:
	.size	_ZN9rocsparseL22gebsrmvn_mxn_16_kernelILj40ELj10ELj4EdEEvi20rocsparse_direction_NS_24const_host_device_scalarIT2_EEPKiS6_PKS3_iiS8_S4_PS3_21rocsparse_index_base_b, .Lfunc_end47-_ZN9rocsparseL22gebsrmvn_mxn_16_kernelILj40ELj10ELj4EdEEvi20rocsparse_direction_NS_24const_host_device_scalarIT2_EEPKiS6_PKS3_iiS8_S4_PS3_21rocsparse_index_base_b
                                        ; -- End function
	.set _ZN9rocsparseL22gebsrmvn_mxn_16_kernelILj40ELj10ELj4EdEEvi20rocsparse_direction_NS_24const_host_device_scalarIT2_EEPKiS6_PKS3_iiS8_S4_PS3_21rocsparse_index_base_b.num_vgpr, 17
	.set _ZN9rocsparseL22gebsrmvn_mxn_16_kernelILj40ELj10ELj4EdEEvi20rocsparse_direction_NS_24const_host_device_scalarIT2_EEPKiS6_PKS3_iiS8_S4_PS3_21rocsparse_index_base_b.num_agpr, 0
	.set _ZN9rocsparseL22gebsrmvn_mxn_16_kernelILj40ELj10ELj4EdEEvi20rocsparse_direction_NS_24const_host_device_scalarIT2_EEPKiS6_PKS3_iiS8_S4_PS3_21rocsparse_index_base_b.numbered_sgpr, 18
	.set _ZN9rocsparseL22gebsrmvn_mxn_16_kernelILj40ELj10ELj4EdEEvi20rocsparse_direction_NS_24const_host_device_scalarIT2_EEPKiS6_PKS3_iiS8_S4_PS3_21rocsparse_index_base_b.num_named_barrier, 0
	.set _ZN9rocsparseL22gebsrmvn_mxn_16_kernelILj40ELj10ELj4EdEEvi20rocsparse_direction_NS_24const_host_device_scalarIT2_EEPKiS6_PKS3_iiS8_S4_PS3_21rocsparse_index_base_b.private_seg_size, 0
	.set _ZN9rocsparseL22gebsrmvn_mxn_16_kernelILj40ELj10ELj4EdEEvi20rocsparse_direction_NS_24const_host_device_scalarIT2_EEPKiS6_PKS3_iiS8_S4_PS3_21rocsparse_index_base_b.uses_vcc, 1
	.set _ZN9rocsparseL22gebsrmvn_mxn_16_kernelILj40ELj10ELj4EdEEvi20rocsparse_direction_NS_24const_host_device_scalarIT2_EEPKiS6_PKS3_iiS8_S4_PS3_21rocsparse_index_base_b.uses_flat_scratch, 0
	.set _ZN9rocsparseL22gebsrmvn_mxn_16_kernelILj40ELj10ELj4EdEEvi20rocsparse_direction_NS_24const_host_device_scalarIT2_EEPKiS6_PKS3_iiS8_S4_PS3_21rocsparse_index_base_b.has_dyn_sized_stack, 0
	.set _ZN9rocsparseL22gebsrmvn_mxn_16_kernelILj40ELj10ELj4EdEEvi20rocsparse_direction_NS_24const_host_device_scalarIT2_EEPKiS6_PKS3_iiS8_S4_PS3_21rocsparse_index_base_b.has_recursion, 0
	.set _ZN9rocsparseL22gebsrmvn_mxn_16_kernelILj40ELj10ELj4EdEEvi20rocsparse_direction_NS_24const_host_device_scalarIT2_EEPKiS6_PKS3_iiS8_S4_PS3_21rocsparse_index_base_b.has_indirect_call, 0
	.section	.AMDGPU.csdata,"",@progbits
; Kernel info:
; codeLenInByte = 916
; TotalNumSgprs: 22
; NumVgprs: 17
; ScratchSize: 0
; MemoryBound: 0
; FloatMode: 240
; IeeeMode: 1
; LDSByteSize: 320 bytes/workgroup (compile time only)
; SGPRBlocks: 2
; VGPRBlocks: 4
; NumSGPRsForWavesPerEU: 22
; NumVGPRsForWavesPerEU: 17
; Occupancy: 10
; WaveLimiterHint : 1
; COMPUTE_PGM_RSRC2:SCRATCH_EN: 0
; COMPUTE_PGM_RSRC2:USER_SGPR: 6
; COMPUTE_PGM_RSRC2:TRAP_HANDLER: 0
; COMPUTE_PGM_RSRC2:TGID_X_EN: 1
; COMPUTE_PGM_RSRC2:TGID_Y_EN: 0
; COMPUTE_PGM_RSRC2:TGID_Z_EN: 0
; COMPUTE_PGM_RSRC2:TIDIG_COMP_CNT: 0
	.section	.text._ZN9rocsparseL22gebsrmvn_mxn_16_kernelILj50ELj10ELj5EdEEvi20rocsparse_direction_NS_24const_host_device_scalarIT2_EEPKiS6_PKS3_iiS8_S4_PS3_21rocsparse_index_base_b,"axG",@progbits,_ZN9rocsparseL22gebsrmvn_mxn_16_kernelILj50ELj10ELj5EdEEvi20rocsparse_direction_NS_24const_host_device_scalarIT2_EEPKiS6_PKS3_iiS8_S4_PS3_21rocsparse_index_base_b,comdat
	.globl	_ZN9rocsparseL22gebsrmvn_mxn_16_kernelILj50ELj10ELj5EdEEvi20rocsparse_direction_NS_24const_host_device_scalarIT2_EEPKiS6_PKS3_iiS8_S4_PS3_21rocsparse_index_base_b ; -- Begin function _ZN9rocsparseL22gebsrmvn_mxn_16_kernelILj50ELj10ELj5EdEEvi20rocsparse_direction_NS_24const_host_device_scalarIT2_EEPKiS6_PKS3_iiS8_S4_PS3_21rocsparse_index_base_b
	.p2align	8
	.type	_ZN9rocsparseL22gebsrmvn_mxn_16_kernelILj50ELj10ELj5EdEEvi20rocsparse_direction_NS_24const_host_device_scalarIT2_EEPKiS6_PKS3_iiS8_S4_PS3_21rocsparse_index_base_b,@function
_ZN9rocsparseL22gebsrmvn_mxn_16_kernelILj50ELj10ELj5EdEEvi20rocsparse_direction_NS_24const_host_device_scalarIT2_EEPKiS6_PKS3_iiS8_S4_PS3_21rocsparse_index_base_b: ; @_ZN9rocsparseL22gebsrmvn_mxn_16_kernelILj50ELj10ELj5EdEEvi20rocsparse_direction_NS_24const_host_device_scalarIT2_EEPKiS6_PKS3_iiS8_S4_PS3_21rocsparse_index_base_b
; %bb.0:
	s_load_dwordx2 s[10:11], s[4:5], 0x48
	s_load_dwordx2 s[8:9], s[4:5], 0x8
	s_load_dwordx2 s[0:1], s[4:5], 0x38
	s_waitcnt lgkmcnt(0)
	s_bitcmp1_b32 s11, 0
	s_cselect_b64 s[12:13], -1, 0
	v_mov_b32_e32 v3, s8
	s_xor_b64 s[2:3], s[12:13], -1
	s_and_b64 vcc, exec, s[12:13]
	v_mov_b32_e32 v4, s9
	s_cbranch_vccnz .LBB48_2
; %bb.1:
	v_mov_b32_e32 v1, s8
	v_mov_b32_e32 v2, s9
	flat_load_dwordx2 v[3:4], v[1:2]
.LBB48_2:
	v_mov_b32_e32 v2, s1
	s_andn2_b64 vcc, exec, s[2:3]
	v_mov_b32_e32 v1, s0
	s_cbranch_vccnz .LBB48_4
; %bb.3:
	v_mov_b32_e32 v2, s1
	v_mov_b32_e32 v1, s0
	flat_load_dwordx2 v[1:2], v[1:2]
.LBB48_4:
	s_waitcnt vmcnt(0) lgkmcnt(0)
	v_cmp_neq_f64_e32 vcc, 0, v[3:4]
	v_cmp_neq_f64_e64 s[0:1], 1.0, v[1:2]
	s_or_b64 s[0:1], vcc, s[0:1]
	s_and_saveexec_b64 s[2:3], s[0:1]
	s_cbranch_execz .LBB48_37
; %bb.5:
	s_load_dwordx2 s[0:1], s[4:5], 0x10
	s_load_dword s2, s[4:5], 0x4
	v_mul_u32_u24_e32 v6, 0x3334, v0
	v_mov_b32_e32 v5, 5
	v_mul_lo_u16_sdwa v6, v6, v5 dst_sel:DWORD dst_unused:UNUSED_PAD src0_sel:WORD_1 src1_sel:DWORD
	v_sub_u16_e32 v12, v0, v6
	s_waitcnt lgkmcnt(0)
	s_cmp_lg_u32 s2, 1
	s_cselect_b64 s[12:13], -1, 0
	s_and_b64 vcc, exec, s[12:13]
	v_mov_b32_e32 v7, v12
	s_cbranch_vccnz .LBB48_7
; %bb.6:
	s_movk_i32 s2, 0x199a
	v_mul_u32_u24_sdwa v6, v0, s2 dst_sel:DWORD dst_unused:UNUSED_PAD src0_sel:WORD_0 src1_sel:DWORD
	v_mov_b32_e32 v7, 52
	v_mul_lo_u16_sdwa v7, v6, v7 dst_sel:DWORD dst_unused:UNUSED_PAD src0_sel:WORD_1 src1_sel:DWORD
	v_mul_lo_u16_sdwa v5, v7, v5 dst_sel:DWORD dst_unused:UNUSED_PAD src0_sel:BYTE_1 src1_sel:DWORD
	v_sub_u16_sdwa v5, v6, v5 dst_sel:DWORD dst_unused:UNUSED_PAD src0_sel:WORD_1 src1_sel:DWORD
	v_and_b32_e32 v7, 0xff, v5
.LBB48_7:
	s_ashr_i32 s7, s6, 31
	s_lshl_b64 s[2:3], s[6:7], 2
	s_add_u32 s0, s0, s2
	s_addc_u32 s1, s1, s3
	s_load_dwordx2 s[16:17], s[0:1], 0x0
	s_load_dwordx2 s[8:9], s[4:5], 0x40
	v_mov_b32_e32 v5, 0
	v_mov_b32_e32 v6, 0
	s_waitcnt lgkmcnt(0)
	s_cmp_ge_i32 s16, s17
	s_cbranch_scc1 .LBB48_12
; %bb.8:
	s_load_dwordx4 s[0:3], s[4:5], 0x18
	s_load_dwordx2 s[14:15], s[4:5], 0x30
	v_mad_u64_u32 v[5:6], s[4:5], s16, 50, v[0:1]
	s_movk_i32 s4, 0x51f
	v_mul_u32_u24_sdwa v13, v0, s4 dst_sel:DWORD dst_unused:UNUSED_PAD src0_sel:WORD_0 src1_sel:DWORD
	s_mul_i32 s4, s10, 50
	v_subrev_u32_e32 v8, s4, v5
	v_mov_b32_e32 v5, 0
	s_sub_i32 s7, s17, s10
	s_sub_i32 s11, s16, s10
	v_mov_b32_e32 v6, 0
	v_mov_b32_e32 v9, 0
	s_branch .LBB48_10
.LBB48_9:                               ;   in Loop: Header=BB48_10 Depth=1
	s_or_b64 exec, exec, s[4:5]
	s_add_i32 s11, s11, 1
	s_cmp_ge_i32 s11, s7
	v_add_u32_e32 v8, 50, v8
	s_cbranch_scc1 .LBB48_12
.LBB48_10:                              ; =>This Inner Loop Header: Depth=1
	v_add_u32_sdwa v10, v13, s11 dst_sel:DWORD dst_unused:UNUSED_PAD src0_sel:WORD_1 src1_sel:DWORD
	v_cmp_gt_i32_e32 vcc, s7, v10
	s_and_saveexec_b64 s[4:5], vcc
	s_cbranch_execz .LBB48_9
; %bb.11:                               ;   in Loop: Header=BB48_10 Depth=1
	v_ashrrev_i32_e32 v11, 31, v10
	v_lshlrev_b64 v[10:11], 2, v[10:11]
	s_waitcnt lgkmcnt(0)
	v_mov_b32_e32 v14, s1
	v_add_co_u32_e32 v10, vcc, s0, v10
	v_addc_co_u32_e32 v11, vcc, v14, v11, vcc
	global_load_dword v14, v[10:11], off
	v_lshlrev_b64 v[10:11], 3, v[8:9]
	v_mov_b32_e32 v16, s3
	v_add_co_u32_e32 v10, vcc, s2, v10
	v_addc_co_u32_e32 v11, vcc, v16, v11, vcc
	v_mov_b32_e32 v17, s15
	global_load_dwordx2 v[10:11], v[10:11], off
	s_waitcnt vmcnt(1)
	v_subrev_u32_e32 v14, s10, v14
	v_mad_u64_u32 v[14:15], s[16:17], v14, 5, v[7:8]
	v_ashrrev_i32_e32 v15, 31, v14
	v_lshlrev_b64 v[14:15], 3, v[14:15]
	v_add_co_u32_e32 v14, vcc, s14, v14
	v_addc_co_u32_e32 v15, vcc, v17, v15, vcc
	global_load_dwordx2 v[14:15], v[14:15], off
	s_waitcnt vmcnt(0)
	v_fma_f64 v[5:6], v[10:11], v[14:15], v[5:6]
	s_branch .LBB48_9
.LBB48_12:
	v_lshlrev_b32_e32 v9, 3, v0
	s_and_b64 vcc, exec, s[12:13]
	ds_write_b64 v9, v[5:6]
	s_waitcnt lgkmcnt(0)
	; wave barrier
	s_cbranch_vccz .LBB48_22
; %bb.13:
	v_cmp_eq_u16_e32 vcc, 0, v12
	s_and_saveexec_b64 s[0:1], vcc
	s_cbranch_execz .LBB48_15
; %bb.14:
	ds_read2_b64 v[13:16], v9 offset1:4
	s_waitcnt lgkmcnt(0)
	v_add_f64 v[7:8], v[15:16], v[13:14]
	ds_write_b64 v9, v[7:8]
.LBB48_15:
	s_or_b64 exec, exec, s[0:1]
	v_cmp_gt_u16_e64 s[0:1], 2, v12
	s_waitcnt lgkmcnt(0)
	; wave barrier
	s_and_saveexec_b64 s[2:3], s[0:1]
	s_cbranch_execz .LBB48_17
; %bb.16:
	ds_read2_b64 v[10:13], v9 offset1:2
	s_waitcnt lgkmcnt(0)
	v_add_f64 v[7:8], v[12:13], v[10:11]
	ds_write_b64 v9, v[7:8]
.LBB48_17:
	s_or_b64 exec, exec, s[2:3]
	s_waitcnt lgkmcnt(0)
	; wave barrier
	s_and_saveexec_b64 s[0:1], vcc
	s_cbranch_execz .LBB48_19
; %bb.18:
	ds_read2_b64 v[10:13], v9 offset1:1
	s_waitcnt lgkmcnt(0)
	v_add_f64 v[7:8], v[12:13], v[10:11]
	ds_write_b64 v9, v[7:8]
.LBB48_19:
	s_or_b64 exec, exec, s[0:1]
	v_mov_b32_e32 v8, v6
	v_cmp_gt_u32_e32 vcc, 10, v0
	v_mov_b32_e32 v7, v5
	s_waitcnt lgkmcnt(0)
	; wave barrier
	s_and_saveexec_b64 s[0:1], vcc
; %bb.20:
	v_lshl_add_u32 v7, v0, 5, v9
	ds_read_b64 v[7:8], v7
; %bb.21:
	s_or_b64 exec, exec, s[0:1]
	v_cmp_gt_u32_e64 s[0:1], 10, v0
	s_branch .LBB48_32
.LBB48_22:
                                        ; implicit-def: $vgpr7_vgpr8
	v_cmp_gt_u32_e64 s[0:1], 10, v0
	s_cbranch_execz .LBB48_32
; %bb.23:
	v_cmp_lt_u32_e32 vcc, 9, v0
	s_and_saveexec_b64 s[2:3], s[0:1]
	s_cbranch_execz .LBB48_25
; %bb.24:
	ds_read2_b64 v[10:13], v9 offset1:40
	s_waitcnt lgkmcnt(0)
	v_add_f64 v[7:8], v[12:13], v[10:11]
	ds_write_b64 v9, v[7:8]
.LBB48_25:
	s_or_b64 exec, exec, s[2:3]
	v_cmp_gt_u32_e64 s[0:1], 20, v0
	s_waitcnt lgkmcnt(0)
	; wave barrier
	s_and_saveexec_b64 s[2:3], s[0:1]
	s_cbranch_execz .LBB48_27
; %bb.26:
	ds_read2_b64 v[10:13], v9 offset1:20
	s_waitcnt lgkmcnt(0)
	v_add_f64 v[7:8], v[12:13], v[10:11]
	ds_write_b64 v9, v[7:8]
.LBB48_27:
	s_or_b64 exec, exec, s[2:3]
	s_waitcnt lgkmcnt(0)
	s_and_saveexec_b64 s[0:1], vcc
	s_xor_b64 s[0:1], exec, s[0:1]
; %bb.28:
                                        ; implicit-def: $vgpr9
; %bb.29:
	s_andn2_saveexec_b64 s[0:1], s[0:1]
	s_cbranch_execz .LBB48_31
; %bb.30:
	ds_read2_b64 v[5:8], v9 offset1:10
	s_waitcnt lgkmcnt(0)
	v_add_f64 v[5:6], v[7:8], v[5:6]
	ds_write_b64 v9, v[5:6]
	s_waitcnt lgkmcnt(0)
	ds_read_b64 v[5:6], v9
.LBB48_31:
	s_or_b64 exec, exec, s[0:1]
	s_waitcnt lgkmcnt(0)
	v_mov_b32_e32 v8, v6
	v_mov_b32_e32 v7, v5
.LBB48_32:
	v_cmp_gt_u32_e32 vcc, 10, v0
	s_and_b64 exec, exec, vcc
	s_cbranch_execz .LBB48_37
; %bb.33:
	v_cmp_eq_f64_e32 vcc, 0, v[1:2]
	s_waitcnt lgkmcnt(0)
	v_mul_f64 v[3:4], v[3:4], v[7:8]
	s_and_saveexec_b64 s[0:1], vcc
	s_xor_b64 s[0:1], exec, s[0:1]
	s_cbranch_execz .LBB48_35
; %bb.34:
	v_mad_u64_u32 v[0:1], s[2:3], s6, 10, v[0:1]
	v_mov_b32_e32 v1, 0
	v_mov_b32_e32 v2, s9
	v_lshlrev_b64 v[0:1], 3, v[0:1]
	v_add_co_u32_e32 v0, vcc, s8, v0
	v_addc_co_u32_e32 v1, vcc, v2, v1, vcc
	global_store_dwordx2 v[0:1], v[3:4], off
                                        ; implicit-def: $vgpr0
                                        ; implicit-def: $vgpr1_vgpr2
                                        ; implicit-def: $vgpr3_vgpr4
.LBB48_35:
	s_andn2_saveexec_b64 s[0:1], s[0:1]
	s_cbranch_execz .LBB48_37
; %bb.36:
	v_mad_u64_u32 v[5:6], s[0:1], s6, 10, v[0:1]
	v_mov_b32_e32 v6, 0
	v_mov_b32_e32 v0, s9
	v_lshlrev_b64 v[5:6], 3, v[5:6]
	v_add_co_u32_e32 v5, vcc, s8, v5
	v_addc_co_u32_e32 v6, vcc, v0, v6, vcc
	global_load_dwordx2 v[7:8], v[5:6], off
	s_waitcnt vmcnt(0)
	v_fma_f64 v[0:1], v[1:2], v[7:8], v[3:4]
	global_store_dwordx2 v[5:6], v[0:1], off
.LBB48_37:
	s_endpgm
	.section	.rodata,"a",@progbits
	.p2align	6, 0x0
	.amdhsa_kernel _ZN9rocsparseL22gebsrmvn_mxn_16_kernelILj50ELj10ELj5EdEEvi20rocsparse_direction_NS_24const_host_device_scalarIT2_EEPKiS6_PKS3_iiS8_S4_PS3_21rocsparse_index_base_b
		.amdhsa_group_segment_fixed_size 400
		.amdhsa_private_segment_fixed_size 0
		.amdhsa_kernarg_size 80
		.amdhsa_user_sgpr_count 6
		.amdhsa_user_sgpr_private_segment_buffer 1
		.amdhsa_user_sgpr_dispatch_ptr 0
		.amdhsa_user_sgpr_queue_ptr 0
		.amdhsa_user_sgpr_kernarg_segment_ptr 1
		.amdhsa_user_sgpr_dispatch_id 0
		.amdhsa_user_sgpr_flat_scratch_init 0
		.amdhsa_user_sgpr_private_segment_size 0
		.amdhsa_uses_dynamic_stack 0
		.amdhsa_system_sgpr_private_segment_wavefront_offset 0
		.amdhsa_system_sgpr_workgroup_id_x 1
		.amdhsa_system_sgpr_workgroup_id_y 0
		.amdhsa_system_sgpr_workgroup_id_z 0
		.amdhsa_system_sgpr_workgroup_info 0
		.amdhsa_system_vgpr_workitem_id 0
		.amdhsa_next_free_vgpr 18
		.amdhsa_next_free_sgpr 18
		.amdhsa_reserve_vcc 1
		.amdhsa_reserve_flat_scratch 0
		.amdhsa_float_round_mode_32 0
		.amdhsa_float_round_mode_16_64 0
		.amdhsa_float_denorm_mode_32 3
		.amdhsa_float_denorm_mode_16_64 3
		.amdhsa_dx10_clamp 1
		.amdhsa_ieee_mode 1
		.amdhsa_fp16_overflow 0
		.amdhsa_exception_fp_ieee_invalid_op 0
		.amdhsa_exception_fp_denorm_src 0
		.amdhsa_exception_fp_ieee_div_zero 0
		.amdhsa_exception_fp_ieee_overflow 0
		.amdhsa_exception_fp_ieee_underflow 0
		.amdhsa_exception_fp_ieee_inexact 0
		.amdhsa_exception_int_div_zero 0
	.end_amdhsa_kernel
	.section	.text._ZN9rocsparseL22gebsrmvn_mxn_16_kernelILj50ELj10ELj5EdEEvi20rocsparse_direction_NS_24const_host_device_scalarIT2_EEPKiS6_PKS3_iiS8_S4_PS3_21rocsparse_index_base_b,"axG",@progbits,_ZN9rocsparseL22gebsrmvn_mxn_16_kernelILj50ELj10ELj5EdEEvi20rocsparse_direction_NS_24const_host_device_scalarIT2_EEPKiS6_PKS3_iiS8_S4_PS3_21rocsparse_index_base_b,comdat
.Lfunc_end48:
	.size	_ZN9rocsparseL22gebsrmvn_mxn_16_kernelILj50ELj10ELj5EdEEvi20rocsparse_direction_NS_24const_host_device_scalarIT2_EEPKiS6_PKS3_iiS8_S4_PS3_21rocsparse_index_base_b, .Lfunc_end48-_ZN9rocsparseL22gebsrmvn_mxn_16_kernelILj50ELj10ELj5EdEEvi20rocsparse_direction_NS_24const_host_device_scalarIT2_EEPKiS6_PKS3_iiS8_S4_PS3_21rocsparse_index_base_b
                                        ; -- End function
	.set _ZN9rocsparseL22gebsrmvn_mxn_16_kernelILj50ELj10ELj5EdEEvi20rocsparse_direction_NS_24const_host_device_scalarIT2_EEPKiS6_PKS3_iiS8_S4_PS3_21rocsparse_index_base_b.num_vgpr, 18
	.set _ZN9rocsparseL22gebsrmvn_mxn_16_kernelILj50ELj10ELj5EdEEvi20rocsparse_direction_NS_24const_host_device_scalarIT2_EEPKiS6_PKS3_iiS8_S4_PS3_21rocsparse_index_base_b.num_agpr, 0
	.set _ZN9rocsparseL22gebsrmvn_mxn_16_kernelILj50ELj10ELj5EdEEvi20rocsparse_direction_NS_24const_host_device_scalarIT2_EEPKiS6_PKS3_iiS8_S4_PS3_21rocsparse_index_base_b.numbered_sgpr, 18
	.set _ZN9rocsparseL22gebsrmvn_mxn_16_kernelILj50ELj10ELj5EdEEvi20rocsparse_direction_NS_24const_host_device_scalarIT2_EEPKiS6_PKS3_iiS8_S4_PS3_21rocsparse_index_base_b.num_named_barrier, 0
	.set _ZN9rocsparseL22gebsrmvn_mxn_16_kernelILj50ELj10ELj5EdEEvi20rocsparse_direction_NS_24const_host_device_scalarIT2_EEPKiS6_PKS3_iiS8_S4_PS3_21rocsparse_index_base_b.private_seg_size, 0
	.set _ZN9rocsparseL22gebsrmvn_mxn_16_kernelILj50ELj10ELj5EdEEvi20rocsparse_direction_NS_24const_host_device_scalarIT2_EEPKiS6_PKS3_iiS8_S4_PS3_21rocsparse_index_base_b.uses_vcc, 1
	.set _ZN9rocsparseL22gebsrmvn_mxn_16_kernelILj50ELj10ELj5EdEEvi20rocsparse_direction_NS_24const_host_device_scalarIT2_EEPKiS6_PKS3_iiS8_S4_PS3_21rocsparse_index_base_b.uses_flat_scratch, 0
	.set _ZN9rocsparseL22gebsrmvn_mxn_16_kernelILj50ELj10ELj5EdEEvi20rocsparse_direction_NS_24const_host_device_scalarIT2_EEPKiS6_PKS3_iiS8_S4_PS3_21rocsparse_index_base_b.has_dyn_sized_stack, 0
	.set _ZN9rocsparseL22gebsrmvn_mxn_16_kernelILj50ELj10ELj5EdEEvi20rocsparse_direction_NS_24const_host_device_scalarIT2_EEPKiS6_PKS3_iiS8_S4_PS3_21rocsparse_index_base_b.has_recursion, 0
	.set _ZN9rocsparseL22gebsrmvn_mxn_16_kernelILj50ELj10ELj5EdEEvi20rocsparse_direction_NS_24const_host_device_scalarIT2_EEPKiS6_PKS3_iiS8_S4_PS3_21rocsparse_index_base_b.has_indirect_call, 0
	.section	.AMDGPU.csdata,"",@progbits
; Kernel info:
; codeLenInByte = 1084
; TotalNumSgprs: 22
; NumVgprs: 18
; ScratchSize: 0
; MemoryBound: 0
; FloatMode: 240
; IeeeMode: 1
; LDSByteSize: 400 bytes/workgroup (compile time only)
; SGPRBlocks: 2
; VGPRBlocks: 4
; NumSGPRsForWavesPerEU: 22
; NumVGPRsForWavesPerEU: 18
; Occupancy: 10
; WaveLimiterHint : 1
; COMPUTE_PGM_RSRC2:SCRATCH_EN: 0
; COMPUTE_PGM_RSRC2:USER_SGPR: 6
; COMPUTE_PGM_RSRC2:TRAP_HANDLER: 0
; COMPUTE_PGM_RSRC2:TGID_X_EN: 1
; COMPUTE_PGM_RSRC2:TGID_Y_EN: 0
; COMPUTE_PGM_RSRC2:TGID_Z_EN: 0
; COMPUTE_PGM_RSRC2:TIDIG_COMP_CNT: 0
	.section	.text._ZN9rocsparseL22gebsrmvn_mxn_16_kernelILj60ELj10ELj6EdEEvi20rocsparse_direction_NS_24const_host_device_scalarIT2_EEPKiS6_PKS3_iiS8_S4_PS3_21rocsparse_index_base_b,"axG",@progbits,_ZN9rocsparseL22gebsrmvn_mxn_16_kernelILj60ELj10ELj6EdEEvi20rocsparse_direction_NS_24const_host_device_scalarIT2_EEPKiS6_PKS3_iiS8_S4_PS3_21rocsparse_index_base_b,comdat
	.globl	_ZN9rocsparseL22gebsrmvn_mxn_16_kernelILj60ELj10ELj6EdEEvi20rocsparse_direction_NS_24const_host_device_scalarIT2_EEPKiS6_PKS3_iiS8_S4_PS3_21rocsparse_index_base_b ; -- Begin function _ZN9rocsparseL22gebsrmvn_mxn_16_kernelILj60ELj10ELj6EdEEvi20rocsparse_direction_NS_24const_host_device_scalarIT2_EEPKiS6_PKS3_iiS8_S4_PS3_21rocsparse_index_base_b
	.p2align	8
	.type	_ZN9rocsparseL22gebsrmvn_mxn_16_kernelILj60ELj10ELj6EdEEvi20rocsparse_direction_NS_24const_host_device_scalarIT2_EEPKiS6_PKS3_iiS8_S4_PS3_21rocsparse_index_base_b,@function
_ZN9rocsparseL22gebsrmvn_mxn_16_kernelILj60ELj10ELj6EdEEvi20rocsparse_direction_NS_24const_host_device_scalarIT2_EEPKiS6_PKS3_iiS8_S4_PS3_21rocsparse_index_base_b: ; @_ZN9rocsparseL22gebsrmvn_mxn_16_kernelILj60ELj10ELj6EdEEvi20rocsparse_direction_NS_24const_host_device_scalarIT2_EEPKiS6_PKS3_iiS8_S4_PS3_21rocsparse_index_base_b
; %bb.0:
	s_load_dwordx2 s[10:11], s[4:5], 0x48
	s_load_dwordx2 s[8:9], s[4:5], 0x8
	;; [unrolled: 1-line block ×3, first 2 shown]
	s_waitcnt lgkmcnt(0)
	s_bitcmp1_b32 s11, 0
	s_cselect_b64 s[12:13], -1, 0
	v_mov_b32_e32 v3, s8
	s_xor_b64 s[2:3], s[12:13], -1
	s_and_b64 vcc, exec, s[12:13]
	v_mov_b32_e32 v4, s9
	s_cbranch_vccnz .LBB49_2
; %bb.1:
	v_mov_b32_e32 v1, s8
	v_mov_b32_e32 v2, s9
	flat_load_dwordx2 v[3:4], v[1:2]
.LBB49_2:
	v_mov_b32_e32 v2, s1
	s_andn2_b64 vcc, exec, s[2:3]
	v_mov_b32_e32 v1, s0
	s_cbranch_vccnz .LBB49_4
; %bb.3:
	v_mov_b32_e32 v2, s1
	v_mov_b32_e32 v1, s0
	flat_load_dwordx2 v[1:2], v[1:2]
.LBB49_4:
	s_waitcnt vmcnt(0) lgkmcnt(0)
	v_cmp_neq_f64_e32 vcc, 0, v[3:4]
	v_cmp_neq_f64_e64 s[0:1], 1.0, v[1:2]
	s_or_b64 s[0:1], vcc, s[0:1]
	s_and_saveexec_b64 s[2:3], s[0:1]
	s_cbranch_execz .LBB49_37
; %bb.5:
	s_load_dwordx2 s[0:1], s[4:5], 0x10
	s_load_dword s2, s[4:5], 0x4
	v_mul_u32_u24_e32 v6, 0x2aab, v0
	v_mov_b32_e32 v5, 6
	v_mul_lo_u16_sdwa v6, v6, v5 dst_sel:DWORD dst_unused:UNUSED_PAD src0_sel:WORD_1 src1_sel:DWORD
	v_sub_u16_e32 v12, v0, v6
	s_waitcnt lgkmcnt(0)
	s_cmp_lg_u32 s2, 1
	s_cselect_b64 s[12:13], -1, 0
	s_and_b64 vcc, exec, s[12:13]
	v_mov_b32_e32 v7, v12
	s_cbranch_vccnz .LBB49_7
; %bb.6:
	s_movk_i32 s2, 0x199a
	v_mul_u32_u24_sdwa v6, v0, s2 dst_sel:DWORD dst_unused:UNUSED_PAD src0_sel:WORD_0 src1_sel:DWORD
	v_mov_b32_e32 v7, 43
	v_mul_lo_u16_sdwa v7, v6, v7 dst_sel:DWORD dst_unused:UNUSED_PAD src0_sel:WORD_1 src1_sel:DWORD
	v_mul_lo_u16_sdwa v5, v7, v5 dst_sel:DWORD dst_unused:UNUSED_PAD src0_sel:BYTE_1 src1_sel:DWORD
	v_sub_u16_sdwa v5, v6, v5 dst_sel:DWORD dst_unused:UNUSED_PAD src0_sel:WORD_1 src1_sel:DWORD
	v_and_b32_e32 v7, 0xff, v5
.LBB49_7:
	s_ashr_i32 s7, s6, 31
	s_lshl_b64 s[2:3], s[6:7], 2
	s_add_u32 s0, s0, s2
	s_addc_u32 s1, s1, s3
	s_load_dwordx2 s[16:17], s[0:1], 0x0
	s_load_dwordx2 s[8:9], s[4:5], 0x40
	v_mov_b32_e32 v5, 0
	v_mov_b32_e32 v6, 0
	s_waitcnt lgkmcnt(0)
	s_cmp_ge_i32 s16, s17
	s_cbranch_scc1 .LBB49_12
; %bb.8:
	s_load_dwordx4 s[0:3], s[4:5], 0x18
	s_load_dwordx2 s[14:15], s[4:5], 0x30
	v_mad_u64_u32 v[5:6], s[4:5], s16, 60, v[0:1]
	s_movk_i32 s4, 0x445
	v_mul_u32_u24_sdwa v13, v0, s4 dst_sel:DWORD dst_unused:UNUSED_PAD src0_sel:WORD_0 src1_sel:DWORD
	s_mul_i32 s4, s10, 60
	v_subrev_u32_e32 v8, s4, v5
	v_mov_b32_e32 v5, 0
	s_sub_i32 s7, s17, s10
	s_sub_i32 s11, s16, s10
	v_mov_b32_e32 v6, 0
	v_mov_b32_e32 v9, 0
	s_branch .LBB49_10
.LBB49_9:                               ;   in Loop: Header=BB49_10 Depth=1
	s_or_b64 exec, exec, s[4:5]
	s_add_i32 s11, s11, 1
	s_cmp_ge_i32 s11, s7
	v_add_u32_e32 v8, 60, v8
	s_cbranch_scc1 .LBB49_12
.LBB49_10:                              ; =>This Inner Loop Header: Depth=1
	v_add_u32_sdwa v10, v13, s11 dst_sel:DWORD dst_unused:UNUSED_PAD src0_sel:WORD_1 src1_sel:DWORD
	v_cmp_gt_i32_e32 vcc, s7, v10
	s_and_saveexec_b64 s[4:5], vcc
	s_cbranch_execz .LBB49_9
; %bb.11:                               ;   in Loop: Header=BB49_10 Depth=1
	v_ashrrev_i32_e32 v11, 31, v10
	v_lshlrev_b64 v[10:11], 2, v[10:11]
	s_waitcnt lgkmcnt(0)
	v_mov_b32_e32 v14, s1
	v_add_co_u32_e32 v10, vcc, s0, v10
	v_addc_co_u32_e32 v11, vcc, v14, v11, vcc
	global_load_dword v14, v[10:11], off
	v_lshlrev_b64 v[10:11], 3, v[8:9]
	v_mov_b32_e32 v16, s3
	v_add_co_u32_e32 v10, vcc, s2, v10
	v_addc_co_u32_e32 v11, vcc, v16, v11, vcc
	v_mov_b32_e32 v17, s15
	global_load_dwordx2 v[10:11], v[10:11], off
	s_waitcnt vmcnt(1)
	v_subrev_u32_e32 v14, s10, v14
	v_mad_u64_u32 v[14:15], s[16:17], v14, 6, v[7:8]
	v_ashrrev_i32_e32 v15, 31, v14
	v_lshlrev_b64 v[14:15], 3, v[14:15]
	v_add_co_u32_e32 v14, vcc, s14, v14
	v_addc_co_u32_e32 v15, vcc, v17, v15, vcc
	global_load_dwordx2 v[14:15], v[14:15], off
	s_waitcnt vmcnt(0)
	v_fma_f64 v[5:6], v[10:11], v[14:15], v[5:6]
	s_branch .LBB49_9
.LBB49_12:
	v_lshlrev_b32_e32 v9, 3, v0
	s_and_b64 vcc, exec, s[12:13]
	ds_write_b64 v9, v[5:6]
	s_waitcnt lgkmcnt(0)
	; wave barrier
	s_cbranch_vccz .LBB49_22
; %bb.13:
	v_cmp_gt_u16_e32 vcc, 2, v12
	s_and_saveexec_b64 s[0:1], vcc
	s_cbranch_execz .LBB49_15
; %bb.14:
	ds_read2_b64 v[13:16], v9 offset1:4
	s_waitcnt lgkmcnt(0)
	v_add_f64 v[7:8], v[15:16], v[13:14]
	ds_write_b64 v9, v[7:8]
.LBB49_15:
	s_or_b64 exec, exec, s[0:1]
	s_waitcnt lgkmcnt(0)
	; wave barrier
	s_and_saveexec_b64 s[0:1], vcc
	s_cbranch_execz .LBB49_17
; %bb.16:
	ds_read2_b64 v[13:16], v9 offset1:2
	s_waitcnt lgkmcnt(0)
	v_add_f64 v[7:8], v[15:16], v[13:14]
	ds_write_b64 v9, v[7:8]
.LBB49_17:
	s_or_b64 exec, exec, s[0:1]
	v_cmp_eq_u16_e32 vcc, 0, v12
	s_waitcnt lgkmcnt(0)
	; wave barrier
	s_and_saveexec_b64 s[0:1], vcc
	s_cbranch_execz .LBB49_19
; %bb.18:
	ds_read2_b64 v[10:13], v9 offset1:1
	s_waitcnt lgkmcnt(0)
	v_add_f64 v[7:8], v[12:13], v[10:11]
	ds_write_b64 v9, v[7:8]
.LBB49_19:
	s_or_b64 exec, exec, s[0:1]
	v_mov_b32_e32 v8, v6
	v_cmp_gt_u32_e32 vcc, 10, v0
	v_mov_b32_e32 v7, v5
	s_waitcnt lgkmcnt(0)
	; wave barrier
	s_and_saveexec_b64 s[0:1], vcc
; %bb.20:
	v_mad_u32_u24 v7, v0, 40, v9
	ds_read_b64 v[7:8], v7
; %bb.21:
	s_or_b64 exec, exec, s[0:1]
	s_branch .LBB49_32
.LBB49_22:
                                        ; implicit-def: $vgpr7_vgpr8
	s_cbranch_execz .LBB49_32
; %bb.23:
	v_cmp_gt_u32_e32 vcc, 20, v0
	s_and_saveexec_b64 s[0:1], vcc
	s_cbranch_execz .LBB49_25
; %bb.24:
	ds_read2_b64 v[10:13], v9 offset1:40
	s_waitcnt lgkmcnt(0)
	v_add_f64 v[7:8], v[12:13], v[10:11]
	ds_write_b64 v9, v[7:8]
.LBB49_25:
	s_or_b64 exec, exec, s[0:1]
	s_waitcnt lgkmcnt(0)
	; wave barrier
	s_and_saveexec_b64 s[0:1], vcc
	s_cbranch_execz .LBB49_27
; %bb.26:
	ds_read2_b64 v[10:13], v9 offset1:20
	s_waitcnt lgkmcnt(0)
	v_add_f64 v[7:8], v[12:13], v[10:11]
	ds_write_b64 v9, v[7:8]
.LBB49_27:
	s_or_b64 exec, exec, s[0:1]
	v_cmp_lt_u32_e32 vcc, 9, v0
	s_waitcnt lgkmcnt(0)
	s_and_saveexec_b64 s[0:1], vcc
	s_xor_b64 s[0:1], exec, s[0:1]
; %bb.28:
                                        ; implicit-def: $vgpr9
; %bb.29:
	s_andn2_saveexec_b64 s[0:1], s[0:1]
	s_cbranch_execz .LBB49_31
; %bb.30:
	ds_read2_b64 v[5:8], v9 offset1:10
	s_waitcnt lgkmcnt(0)
	v_add_f64 v[5:6], v[7:8], v[5:6]
	ds_write_b64 v9, v[5:6]
	s_waitcnt lgkmcnt(0)
	ds_read_b64 v[5:6], v9
.LBB49_31:
	s_or_b64 exec, exec, s[0:1]
	s_waitcnt lgkmcnt(0)
	v_mov_b32_e32 v8, v6
	v_mov_b32_e32 v7, v5
.LBB49_32:
	v_cmp_gt_u32_e32 vcc, 10, v0
	s_and_b64 exec, exec, vcc
	s_cbranch_execz .LBB49_37
; %bb.33:
	v_cmp_eq_f64_e32 vcc, 0, v[1:2]
	s_waitcnt lgkmcnt(0)
	v_mul_f64 v[3:4], v[3:4], v[7:8]
	s_and_saveexec_b64 s[0:1], vcc
	s_xor_b64 s[0:1], exec, s[0:1]
	s_cbranch_execz .LBB49_35
; %bb.34:
	v_mad_u64_u32 v[0:1], s[2:3], s6, 10, v[0:1]
	v_mov_b32_e32 v1, 0
	v_mov_b32_e32 v2, s9
	v_lshlrev_b64 v[0:1], 3, v[0:1]
	v_add_co_u32_e32 v0, vcc, s8, v0
	v_addc_co_u32_e32 v1, vcc, v2, v1, vcc
	global_store_dwordx2 v[0:1], v[3:4], off
                                        ; implicit-def: $vgpr0
                                        ; implicit-def: $vgpr1_vgpr2
                                        ; implicit-def: $vgpr3_vgpr4
.LBB49_35:
	s_andn2_saveexec_b64 s[0:1], s[0:1]
	s_cbranch_execz .LBB49_37
; %bb.36:
	v_mad_u64_u32 v[5:6], s[0:1], s6, 10, v[0:1]
	v_mov_b32_e32 v6, 0
	v_mov_b32_e32 v0, s9
	v_lshlrev_b64 v[5:6], 3, v[5:6]
	v_add_co_u32_e32 v5, vcc, s8, v5
	v_addc_co_u32_e32 v6, vcc, v0, v6, vcc
	global_load_dwordx2 v[7:8], v[5:6], off
	s_waitcnt vmcnt(0)
	v_fma_f64 v[0:1], v[1:2], v[7:8], v[3:4]
	global_store_dwordx2 v[5:6], v[0:1], off
.LBB49_37:
	s_endpgm
	.section	.rodata,"a",@progbits
	.p2align	6, 0x0
	.amdhsa_kernel _ZN9rocsparseL22gebsrmvn_mxn_16_kernelILj60ELj10ELj6EdEEvi20rocsparse_direction_NS_24const_host_device_scalarIT2_EEPKiS6_PKS3_iiS8_S4_PS3_21rocsparse_index_base_b
		.amdhsa_group_segment_fixed_size 480
		.amdhsa_private_segment_fixed_size 0
		.amdhsa_kernarg_size 80
		.amdhsa_user_sgpr_count 6
		.amdhsa_user_sgpr_private_segment_buffer 1
		.amdhsa_user_sgpr_dispatch_ptr 0
		.amdhsa_user_sgpr_queue_ptr 0
		.amdhsa_user_sgpr_kernarg_segment_ptr 1
		.amdhsa_user_sgpr_dispatch_id 0
		.amdhsa_user_sgpr_flat_scratch_init 0
		.amdhsa_user_sgpr_private_segment_size 0
		.amdhsa_uses_dynamic_stack 0
		.amdhsa_system_sgpr_private_segment_wavefront_offset 0
		.amdhsa_system_sgpr_workgroup_id_x 1
		.amdhsa_system_sgpr_workgroup_id_y 0
		.amdhsa_system_sgpr_workgroup_id_z 0
		.amdhsa_system_sgpr_workgroup_info 0
		.amdhsa_system_vgpr_workitem_id 0
		.amdhsa_next_free_vgpr 18
		.amdhsa_next_free_sgpr 18
		.amdhsa_reserve_vcc 1
		.amdhsa_reserve_flat_scratch 0
		.amdhsa_float_round_mode_32 0
		.amdhsa_float_round_mode_16_64 0
		.amdhsa_float_denorm_mode_32 3
		.amdhsa_float_denorm_mode_16_64 3
		.amdhsa_dx10_clamp 1
		.amdhsa_ieee_mode 1
		.amdhsa_fp16_overflow 0
		.amdhsa_exception_fp_ieee_invalid_op 0
		.amdhsa_exception_fp_denorm_src 0
		.amdhsa_exception_fp_ieee_div_zero 0
		.amdhsa_exception_fp_ieee_overflow 0
		.amdhsa_exception_fp_ieee_underflow 0
		.amdhsa_exception_fp_ieee_inexact 0
		.amdhsa_exception_int_div_zero 0
	.end_amdhsa_kernel
	.section	.text._ZN9rocsparseL22gebsrmvn_mxn_16_kernelILj60ELj10ELj6EdEEvi20rocsparse_direction_NS_24const_host_device_scalarIT2_EEPKiS6_PKS3_iiS8_S4_PS3_21rocsparse_index_base_b,"axG",@progbits,_ZN9rocsparseL22gebsrmvn_mxn_16_kernelILj60ELj10ELj6EdEEvi20rocsparse_direction_NS_24const_host_device_scalarIT2_EEPKiS6_PKS3_iiS8_S4_PS3_21rocsparse_index_base_b,comdat
.Lfunc_end49:
	.size	_ZN9rocsparseL22gebsrmvn_mxn_16_kernelILj60ELj10ELj6EdEEvi20rocsparse_direction_NS_24const_host_device_scalarIT2_EEPKiS6_PKS3_iiS8_S4_PS3_21rocsparse_index_base_b, .Lfunc_end49-_ZN9rocsparseL22gebsrmvn_mxn_16_kernelILj60ELj10ELj6EdEEvi20rocsparse_direction_NS_24const_host_device_scalarIT2_EEPKiS6_PKS3_iiS8_S4_PS3_21rocsparse_index_base_b
                                        ; -- End function
	.set _ZN9rocsparseL22gebsrmvn_mxn_16_kernelILj60ELj10ELj6EdEEvi20rocsparse_direction_NS_24const_host_device_scalarIT2_EEPKiS6_PKS3_iiS8_S4_PS3_21rocsparse_index_base_b.num_vgpr, 18
	.set _ZN9rocsparseL22gebsrmvn_mxn_16_kernelILj60ELj10ELj6EdEEvi20rocsparse_direction_NS_24const_host_device_scalarIT2_EEPKiS6_PKS3_iiS8_S4_PS3_21rocsparse_index_base_b.num_agpr, 0
	.set _ZN9rocsparseL22gebsrmvn_mxn_16_kernelILj60ELj10ELj6EdEEvi20rocsparse_direction_NS_24const_host_device_scalarIT2_EEPKiS6_PKS3_iiS8_S4_PS3_21rocsparse_index_base_b.numbered_sgpr, 18
	.set _ZN9rocsparseL22gebsrmvn_mxn_16_kernelILj60ELj10ELj6EdEEvi20rocsparse_direction_NS_24const_host_device_scalarIT2_EEPKiS6_PKS3_iiS8_S4_PS3_21rocsparse_index_base_b.num_named_barrier, 0
	.set _ZN9rocsparseL22gebsrmvn_mxn_16_kernelILj60ELj10ELj6EdEEvi20rocsparse_direction_NS_24const_host_device_scalarIT2_EEPKiS6_PKS3_iiS8_S4_PS3_21rocsparse_index_base_b.private_seg_size, 0
	.set _ZN9rocsparseL22gebsrmvn_mxn_16_kernelILj60ELj10ELj6EdEEvi20rocsparse_direction_NS_24const_host_device_scalarIT2_EEPKiS6_PKS3_iiS8_S4_PS3_21rocsparse_index_base_b.uses_vcc, 1
	.set _ZN9rocsparseL22gebsrmvn_mxn_16_kernelILj60ELj10ELj6EdEEvi20rocsparse_direction_NS_24const_host_device_scalarIT2_EEPKiS6_PKS3_iiS8_S4_PS3_21rocsparse_index_base_b.uses_flat_scratch, 0
	.set _ZN9rocsparseL22gebsrmvn_mxn_16_kernelILj60ELj10ELj6EdEEvi20rocsparse_direction_NS_24const_host_device_scalarIT2_EEPKiS6_PKS3_iiS8_S4_PS3_21rocsparse_index_base_b.has_dyn_sized_stack, 0
	.set _ZN9rocsparseL22gebsrmvn_mxn_16_kernelILj60ELj10ELj6EdEEvi20rocsparse_direction_NS_24const_host_device_scalarIT2_EEPKiS6_PKS3_iiS8_S4_PS3_21rocsparse_index_base_b.has_recursion, 0
	.set _ZN9rocsparseL22gebsrmvn_mxn_16_kernelILj60ELj10ELj6EdEEvi20rocsparse_direction_NS_24const_host_device_scalarIT2_EEPKiS6_PKS3_iiS8_S4_PS3_21rocsparse_index_base_b.has_indirect_call, 0
	.section	.AMDGPU.csdata,"",@progbits
; Kernel info:
; codeLenInByte = 1060
; TotalNumSgprs: 22
; NumVgprs: 18
; ScratchSize: 0
; MemoryBound: 0
; FloatMode: 240
; IeeeMode: 1
; LDSByteSize: 480 bytes/workgroup (compile time only)
; SGPRBlocks: 2
; VGPRBlocks: 4
; NumSGPRsForWavesPerEU: 22
; NumVGPRsForWavesPerEU: 18
; Occupancy: 10
; WaveLimiterHint : 1
; COMPUTE_PGM_RSRC2:SCRATCH_EN: 0
; COMPUTE_PGM_RSRC2:USER_SGPR: 6
; COMPUTE_PGM_RSRC2:TRAP_HANDLER: 0
; COMPUTE_PGM_RSRC2:TGID_X_EN: 1
; COMPUTE_PGM_RSRC2:TGID_Y_EN: 0
; COMPUTE_PGM_RSRC2:TGID_Z_EN: 0
; COMPUTE_PGM_RSRC2:TIDIG_COMP_CNT: 0
	.section	.text._ZN9rocsparseL22gebsrmvn_mxn_16_kernelILj70ELj10ELj7EdEEvi20rocsparse_direction_NS_24const_host_device_scalarIT2_EEPKiS6_PKS3_iiS8_S4_PS3_21rocsparse_index_base_b,"axG",@progbits,_ZN9rocsparseL22gebsrmvn_mxn_16_kernelILj70ELj10ELj7EdEEvi20rocsparse_direction_NS_24const_host_device_scalarIT2_EEPKiS6_PKS3_iiS8_S4_PS3_21rocsparse_index_base_b,comdat
	.globl	_ZN9rocsparseL22gebsrmvn_mxn_16_kernelILj70ELj10ELj7EdEEvi20rocsparse_direction_NS_24const_host_device_scalarIT2_EEPKiS6_PKS3_iiS8_S4_PS3_21rocsparse_index_base_b ; -- Begin function _ZN9rocsparseL22gebsrmvn_mxn_16_kernelILj70ELj10ELj7EdEEvi20rocsparse_direction_NS_24const_host_device_scalarIT2_EEPKiS6_PKS3_iiS8_S4_PS3_21rocsparse_index_base_b
	.p2align	8
	.type	_ZN9rocsparseL22gebsrmvn_mxn_16_kernelILj70ELj10ELj7EdEEvi20rocsparse_direction_NS_24const_host_device_scalarIT2_EEPKiS6_PKS3_iiS8_S4_PS3_21rocsparse_index_base_b,@function
_ZN9rocsparseL22gebsrmvn_mxn_16_kernelILj70ELj10ELj7EdEEvi20rocsparse_direction_NS_24const_host_device_scalarIT2_EEPKiS6_PKS3_iiS8_S4_PS3_21rocsparse_index_base_b: ; @_ZN9rocsparseL22gebsrmvn_mxn_16_kernelILj70ELj10ELj7EdEEvi20rocsparse_direction_NS_24const_host_device_scalarIT2_EEPKiS6_PKS3_iiS8_S4_PS3_21rocsparse_index_base_b
; %bb.0:
	s_load_dwordx2 s[10:11], s[4:5], 0x48
	s_load_dwordx2 s[8:9], s[4:5], 0x8
	;; [unrolled: 1-line block ×3, first 2 shown]
	s_waitcnt lgkmcnt(0)
	s_bitcmp1_b32 s11, 0
	s_cselect_b64 s[12:13], -1, 0
	v_mov_b32_e32 v3, s8
	s_xor_b64 s[2:3], s[12:13], -1
	s_and_b64 vcc, exec, s[12:13]
	v_mov_b32_e32 v4, s9
	s_cbranch_vccnz .LBB50_2
; %bb.1:
	v_mov_b32_e32 v1, s8
	v_mov_b32_e32 v2, s9
	flat_load_dwordx2 v[3:4], v[1:2]
.LBB50_2:
	v_mov_b32_e32 v2, s1
	s_andn2_b64 vcc, exec, s[2:3]
	v_mov_b32_e32 v1, s0
	s_cbranch_vccnz .LBB50_4
; %bb.3:
	v_mov_b32_e32 v2, s1
	v_mov_b32_e32 v1, s0
	flat_load_dwordx2 v[1:2], v[1:2]
.LBB50_4:
	s_waitcnt vmcnt(0) lgkmcnt(0)
	v_cmp_neq_f64_e32 vcc, 0, v[3:4]
	v_cmp_neq_f64_e64 s[0:1], 1.0, v[1:2]
	s_or_b64 s[0:1], vcc, s[0:1]
	s_and_saveexec_b64 s[2:3], s[0:1]
	s_cbranch_execz .LBB50_37
; %bb.5:
	s_load_dwordx2 s[0:1], s[4:5], 0x10
	s_load_dword s2, s[4:5], 0x4
	v_mul_u32_u24_e32 v6, 0x2493, v0
	v_mov_b32_e32 v5, 7
	v_mul_lo_u16_sdwa v6, v6, v5 dst_sel:DWORD dst_unused:UNUSED_PAD src0_sel:WORD_1 src1_sel:DWORD
	v_sub_u16_e32 v12, v0, v6
	s_waitcnt lgkmcnt(0)
	s_cmp_lg_u32 s2, 1
	s_cselect_b64 s[12:13], -1, 0
	s_and_b64 vcc, exec, s[12:13]
	v_mov_b32_e32 v7, v12
	s_cbranch_vccnz .LBB50_7
; %bb.6:
	s_movk_i32 s2, 0x199a
	v_mul_u32_u24_sdwa v6, v0, s2 dst_sel:DWORD dst_unused:UNUSED_PAD src0_sel:WORD_0 src1_sel:DWORD
	v_mov_b32_e32 v7, 37
	v_mul_lo_u16_sdwa v7, v6, v7 dst_sel:DWORD dst_unused:UNUSED_PAD src0_sel:WORD_1 src1_sel:DWORD
	v_mul_lo_u16_sdwa v5, v7, v5 dst_sel:DWORD dst_unused:UNUSED_PAD src0_sel:BYTE_1 src1_sel:DWORD
	v_sub_u16_sdwa v5, v6, v5 dst_sel:DWORD dst_unused:UNUSED_PAD src0_sel:WORD_1 src1_sel:DWORD
	v_and_b32_e32 v7, 0xff, v5
.LBB50_7:
	s_ashr_i32 s7, s6, 31
	s_lshl_b64 s[2:3], s[6:7], 2
	s_add_u32 s0, s0, s2
	s_addc_u32 s1, s1, s3
	s_load_dwordx2 s[16:17], s[0:1], 0x0
	s_load_dwordx2 s[8:9], s[4:5], 0x40
	v_mov_b32_e32 v5, 0
	v_mov_b32_e32 v6, 0
	s_waitcnt lgkmcnt(0)
	s_cmp_ge_i32 s16, s17
	s_cbranch_scc1 .LBB50_12
; %bb.8:
	s_load_dwordx4 s[0:3], s[4:5], 0x18
	s_load_dwordx2 s[14:15], s[4:5], 0x30
	s_movk_i32 s4, 0x3a9
	v_mul_u32_u24_sdwa v13, v0, s4 dst_sel:DWORD dst_unused:UNUSED_PAD src0_sel:WORD_0 src1_sel:DWORD
	s_mul_i32 s4, s16, 0x46
	v_add_u32_e32 v5, s4, v0
	s_mul_i32 s4, s10, 0x46
	v_subrev_u32_e32 v8, s4, v5
	v_mov_b32_e32 v5, 0
	s_sub_i32 s7, s17, s10
	s_sub_i32 s11, s16, s10
	v_mov_b32_e32 v6, 0
	v_mov_b32_e32 v9, 0
	s_branch .LBB50_10
.LBB50_9:                               ;   in Loop: Header=BB50_10 Depth=1
	s_or_b64 exec, exec, s[4:5]
	s_add_i32 s11, s11, 1
	s_cmp_ge_i32 s11, s7
	v_add_u32_e32 v8, 0x46, v8
	s_cbranch_scc1 .LBB50_12
.LBB50_10:                              ; =>This Inner Loop Header: Depth=1
	v_add_u32_sdwa v10, v13, s11 dst_sel:DWORD dst_unused:UNUSED_PAD src0_sel:WORD_1 src1_sel:DWORD
	v_cmp_gt_i32_e32 vcc, s7, v10
	s_and_saveexec_b64 s[4:5], vcc
	s_cbranch_execz .LBB50_9
; %bb.11:                               ;   in Loop: Header=BB50_10 Depth=1
	v_ashrrev_i32_e32 v11, 31, v10
	v_lshlrev_b64 v[10:11], 2, v[10:11]
	s_waitcnt lgkmcnt(0)
	v_mov_b32_e32 v14, s1
	v_add_co_u32_e32 v10, vcc, s0, v10
	v_addc_co_u32_e32 v11, vcc, v14, v11, vcc
	global_load_dword v14, v[10:11], off
	v_lshlrev_b64 v[10:11], 3, v[8:9]
	v_mov_b32_e32 v16, s3
	v_add_co_u32_e32 v10, vcc, s2, v10
	v_addc_co_u32_e32 v11, vcc, v16, v11, vcc
	v_mov_b32_e32 v17, s15
	global_load_dwordx2 v[10:11], v[10:11], off
	s_waitcnt vmcnt(1)
	v_subrev_u32_e32 v14, s10, v14
	v_mad_u64_u32 v[14:15], s[16:17], v14, 7, v[7:8]
	v_ashrrev_i32_e32 v15, 31, v14
	v_lshlrev_b64 v[14:15], 3, v[14:15]
	v_add_co_u32_e32 v14, vcc, s14, v14
	v_addc_co_u32_e32 v15, vcc, v17, v15, vcc
	global_load_dwordx2 v[14:15], v[14:15], off
	s_waitcnt vmcnt(0)
	v_fma_f64 v[5:6], v[10:11], v[14:15], v[5:6]
	s_branch .LBB50_9
.LBB50_12:
	v_lshlrev_b32_e32 v9, 3, v0
	s_and_b64 vcc, exec, s[12:13]
	ds_write_b64 v9, v[5:6]
	s_waitcnt lgkmcnt(0)
	s_barrier
	s_cbranch_vccz .LBB50_22
; %bb.13:
	v_cmp_gt_u16_e32 vcc, 3, v12
	s_and_saveexec_b64 s[0:1], vcc
	s_cbranch_execz .LBB50_15
; %bb.14:
	ds_read2_b64 v[13:16], v9 offset1:4
	s_waitcnt lgkmcnt(0)
	v_add_f64 v[7:8], v[15:16], v[13:14]
	ds_write_b64 v9, v[7:8]
.LBB50_15:
	s_or_b64 exec, exec, s[0:1]
	v_cmp_gt_u16_e32 vcc, 2, v12
	s_waitcnt lgkmcnt(0)
	s_barrier
	s_and_saveexec_b64 s[0:1], vcc
	s_cbranch_execz .LBB50_17
; %bb.16:
	ds_read2_b64 v[13:16], v9 offset1:2
	s_waitcnt lgkmcnt(0)
	v_add_f64 v[7:8], v[15:16], v[13:14]
	ds_write_b64 v9, v[7:8]
.LBB50_17:
	s_or_b64 exec, exec, s[0:1]
	v_cmp_eq_u16_e32 vcc, 0, v12
	s_waitcnt lgkmcnt(0)
	s_barrier
	s_and_saveexec_b64 s[0:1], vcc
	s_cbranch_execz .LBB50_19
; %bb.18:
	ds_read2_b64 v[10:13], v9 offset1:1
	s_waitcnt lgkmcnt(0)
	v_add_f64 v[7:8], v[12:13], v[10:11]
	ds_write_b64 v9, v[7:8]
.LBB50_19:
	s_or_b64 exec, exec, s[0:1]
	v_mov_b32_e32 v8, v6
	v_cmp_gt_u32_e32 vcc, 10, v0
	v_mov_b32_e32 v7, v5
	s_waitcnt lgkmcnt(0)
	s_barrier
	s_and_saveexec_b64 s[0:1], vcc
; %bb.20:
	v_mad_u32_u24 v7, v0, 48, v9
	ds_read_b64 v[7:8], v7
; %bb.21:
	s_or_b64 exec, exec, s[0:1]
	s_branch .LBB50_32
.LBB50_22:
                                        ; implicit-def: $vgpr7_vgpr8
	s_cbranch_execz .LBB50_32
; %bb.23:
	v_cmp_gt_u32_e32 vcc, 30, v0
	s_and_saveexec_b64 s[0:1], vcc
	s_cbranch_execz .LBB50_25
; %bb.24:
	ds_read2_b64 v[10:13], v9 offset1:40
	s_waitcnt lgkmcnt(0)
	v_add_f64 v[7:8], v[12:13], v[10:11]
	ds_write_b64 v9, v[7:8]
.LBB50_25:
	s_or_b64 exec, exec, s[0:1]
	v_cmp_gt_u32_e32 vcc, 20, v0
	s_waitcnt lgkmcnt(0)
	s_barrier
	s_and_saveexec_b64 s[0:1], vcc
	s_cbranch_execz .LBB50_27
; %bb.26:
	ds_read2_b64 v[10:13], v9 offset1:20
	s_waitcnt lgkmcnt(0)
	v_add_f64 v[7:8], v[12:13], v[10:11]
	ds_write_b64 v9, v[7:8]
.LBB50_27:
	s_or_b64 exec, exec, s[0:1]
	v_cmp_lt_u32_e32 vcc, 9, v0
	s_waitcnt lgkmcnt(0)
	s_and_saveexec_b64 s[0:1], vcc
	s_xor_b64 s[0:1], exec, s[0:1]
; %bb.28:
                                        ; implicit-def: $vgpr9
; %bb.29:
	s_andn2_saveexec_b64 s[0:1], s[0:1]
	s_cbranch_execz .LBB50_31
; %bb.30:
	ds_read2_b64 v[5:8], v9 offset1:10
	s_waitcnt lgkmcnt(0)
	v_add_f64 v[5:6], v[7:8], v[5:6]
	ds_write_b64 v9, v[5:6]
	s_waitcnt lgkmcnt(0)
	ds_read_b64 v[5:6], v9
.LBB50_31:
	s_or_b64 exec, exec, s[0:1]
	s_waitcnt lgkmcnt(0)
	v_mov_b32_e32 v8, v6
	v_mov_b32_e32 v7, v5
.LBB50_32:
	v_cmp_gt_u32_e32 vcc, 10, v0
	s_and_b64 exec, exec, vcc
	s_cbranch_execz .LBB50_37
; %bb.33:
	v_cmp_eq_f64_e32 vcc, 0, v[1:2]
	s_waitcnt lgkmcnt(0)
	v_mul_f64 v[3:4], v[3:4], v[7:8]
	s_and_saveexec_b64 s[0:1], vcc
	s_xor_b64 s[0:1], exec, s[0:1]
	s_cbranch_execz .LBB50_35
; %bb.34:
	v_mad_u64_u32 v[0:1], s[2:3], s6, 10, v[0:1]
	v_mov_b32_e32 v1, 0
	v_mov_b32_e32 v2, s9
	v_lshlrev_b64 v[0:1], 3, v[0:1]
	v_add_co_u32_e32 v0, vcc, s8, v0
	v_addc_co_u32_e32 v1, vcc, v2, v1, vcc
	global_store_dwordx2 v[0:1], v[3:4], off
                                        ; implicit-def: $vgpr0
                                        ; implicit-def: $vgpr1_vgpr2
                                        ; implicit-def: $vgpr3_vgpr4
.LBB50_35:
	s_andn2_saveexec_b64 s[0:1], s[0:1]
	s_cbranch_execz .LBB50_37
; %bb.36:
	v_mad_u64_u32 v[5:6], s[0:1], s6, 10, v[0:1]
	v_mov_b32_e32 v6, 0
	v_mov_b32_e32 v0, s9
	v_lshlrev_b64 v[5:6], 3, v[5:6]
	v_add_co_u32_e32 v5, vcc, s8, v5
	v_addc_co_u32_e32 v6, vcc, v0, v6, vcc
	global_load_dwordx2 v[7:8], v[5:6], off
	s_waitcnt vmcnt(0)
	v_fma_f64 v[0:1], v[1:2], v[7:8], v[3:4]
	global_store_dwordx2 v[5:6], v[0:1], off
.LBB50_37:
	s_endpgm
	.section	.rodata,"a",@progbits
	.p2align	6, 0x0
	.amdhsa_kernel _ZN9rocsparseL22gebsrmvn_mxn_16_kernelILj70ELj10ELj7EdEEvi20rocsparse_direction_NS_24const_host_device_scalarIT2_EEPKiS6_PKS3_iiS8_S4_PS3_21rocsparse_index_base_b
		.amdhsa_group_segment_fixed_size 560
		.amdhsa_private_segment_fixed_size 0
		.amdhsa_kernarg_size 80
		.amdhsa_user_sgpr_count 6
		.amdhsa_user_sgpr_private_segment_buffer 1
		.amdhsa_user_sgpr_dispatch_ptr 0
		.amdhsa_user_sgpr_queue_ptr 0
		.amdhsa_user_sgpr_kernarg_segment_ptr 1
		.amdhsa_user_sgpr_dispatch_id 0
		.amdhsa_user_sgpr_flat_scratch_init 0
		.amdhsa_user_sgpr_private_segment_size 0
		.amdhsa_uses_dynamic_stack 0
		.amdhsa_system_sgpr_private_segment_wavefront_offset 0
		.amdhsa_system_sgpr_workgroup_id_x 1
		.amdhsa_system_sgpr_workgroup_id_y 0
		.amdhsa_system_sgpr_workgroup_id_z 0
		.amdhsa_system_sgpr_workgroup_info 0
		.amdhsa_system_vgpr_workitem_id 0
		.amdhsa_next_free_vgpr 18
		.amdhsa_next_free_sgpr 18
		.amdhsa_reserve_vcc 1
		.amdhsa_reserve_flat_scratch 0
		.amdhsa_float_round_mode_32 0
		.amdhsa_float_round_mode_16_64 0
		.amdhsa_float_denorm_mode_32 3
		.amdhsa_float_denorm_mode_16_64 3
		.amdhsa_dx10_clamp 1
		.amdhsa_ieee_mode 1
		.amdhsa_fp16_overflow 0
		.amdhsa_exception_fp_ieee_invalid_op 0
		.amdhsa_exception_fp_denorm_src 0
		.amdhsa_exception_fp_ieee_div_zero 0
		.amdhsa_exception_fp_ieee_overflow 0
		.amdhsa_exception_fp_ieee_underflow 0
		.amdhsa_exception_fp_ieee_inexact 0
		.amdhsa_exception_int_div_zero 0
	.end_amdhsa_kernel
	.section	.text._ZN9rocsparseL22gebsrmvn_mxn_16_kernelILj70ELj10ELj7EdEEvi20rocsparse_direction_NS_24const_host_device_scalarIT2_EEPKiS6_PKS3_iiS8_S4_PS3_21rocsparse_index_base_b,"axG",@progbits,_ZN9rocsparseL22gebsrmvn_mxn_16_kernelILj70ELj10ELj7EdEEvi20rocsparse_direction_NS_24const_host_device_scalarIT2_EEPKiS6_PKS3_iiS8_S4_PS3_21rocsparse_index_base_b,comdat
.Lfunc_end50:
	.size	_ZN9rocsparseL22gebsrmvn_mxn_16_kernelILj70ELj10ELj7EdEEvi20rocsparse_direction_NS_24const_host_device_scalarIT2_EEPKiS6_PKS3_iiS8_S4_PS3_21rocsparse_index_base_b, .Lfunc_end50-_ZN9rocsparseL22gebsrmvn_mxn_16_kernelILj70ELj10ELj7EdEEvi20rocsparse_direction_NS_24const_host_device_scalarIT2_EEPKiS6_PKS3_iiS8_S4_PS3_21rocsparse_index_base_b
                                        ; -- End function
	.set _ZN9rocsparseL22gebsrmvn_mxn_16_kernelILj70ELj10ELj7EdEEvi20rocsparse_direction_NS_24const_host_device_scalarIT2_EEPKiS6_PKS3_iiS8_S4_PS3_21rocsparse_index_base_b.num_vgpr, 18
	.set _ZN9rocsparseL22gebsrmvn_mxn_16_kernelILj70ELj10ELj7EdEEvi20rocsparse_direction_NS_24const_host_device_scalarIT2_EEPKiS6_PKS3_iiS8_S4_PS3_21rocsparse_index_base_b.num_agpr, 0
	.set _ZN9rocsparseL22gebsrmvn_mxn_16_kernelILj70ELj10ELj7EdEEvi20rocsparse_direction_NS_24const_host_device_scalarIT2_EEPKiS6_PKS3_iiS8_S4_PS3_21rocsparse_index_base_b.numbered_sgpr, 18
	.set _ZN9rocsparseL22gebsrmvn_mxn_16_kernelILj70ELj10ELj7EdEEvi20rocsparse_direction_NS_24const_host_device_scalarIT2_EEPKiS6_PKS3_iiS8_S4_PS3_21rocsparse_index_base_b.num_named_barrier, 0
	.set _ZN9rocsparseL22gebsrmvn_mxn_16_kernelILj70ELj10ELj7EdEEvi20rocsparse_direction_NS_24const_host_device_scalarIT2_EEPKiS6_PKS3_iiS8_S4_PS3_21rocsparse_index_base_b.private_seg_size, 0
	.set _ZN9rocsparseL22gebsrmvn_mxn_16_kernelILj70ELj10ELj7EdEEvi20rocsparse_direction_NS_24const_host_device_scalarIT2_EEPKiS6_PKS3_iiS8_S4_PS3_21rocsparse_index_base_b.uses_vcc, 1
	.set _ZN9rocsparseL22gebsrmvn_mxn_16_kernelILj70ELj10ELj7EdEEvi20rocsparse_direction_NS_24const_host_device_scalarIT2_EEPKiS6_PKS3_iiS8_S4_PS3_21rocsparse_index_base_b.uses_flat_scratch, 0
	.set _ZN9rocsparseL22gebsrmvn_mxn_16_kernelILj70ELj10ELj7EdEEvi20rocsparse_direction_NS_24const_host_device_scalarIT2_EEPKiS6_PKS3_iiS8_S4_PS3_21rocsparse_index_base_b.has_dyn_sized_stack, 0
	.set _ZN9rocsparseL22gebsrmvn_mxn_16_kernelILj70ELj10ELj7EdEEvi20rocsparse_direction_NS_24const_host_device_scalarIT2_EEPKiS6_PKS3_iiS8_S4_PS3_21rocsparse_index_base_b.has_recursion, 0
	.set _ZN9rocsparseL22gebsrmvn_mxn_16_kernelILj70ELj10ELj7EdEEvi20rocsparse_direction_NS_24const_host_device_scalarIT2_EEPKiS6_PKS3_iiS8_S4_PS3_21rocsparse_index_base_b.has_indirect_call, 0
	.section	.AMDGPU.csdata,"",@progbits
; Kernel info:
; codeLenInByte = 1100
; TotalNumSgprs: 22
; NumVgprs: 18
; ScratchSize: 0
; MemoryBound: 0
; FloatMode: 240
; IeeeMode: 1
; LDSByteSize: 560 bytes/workgroup (compile time only)
; SGPRBlocks: 2
; VGPRBlocks: 4
; NumSGPRsForWavesPerEU: 22
; NumVGPRsForWavesPerEU: 18
; Occupancy: 10
; WaveLimiterHint : 1
; COMPUTE_PGM_RSRC2:SCRATCH_EN: 0
; COMPUTE_PGM_RSRC2:USER_SGPR: 6
; COMPUTE_PGM_RSRC2:TRAP_HANDLER: 0
; COMPUTE_PGM_RSRC2:TGID_X_EN: 1
; COMPUTE_PGM_RSRC2:TGID_Y_EN: 0
; COMPUTE_PGM_RSRC2:TGID_Z_EN: 0
; COMPUTE_PGM_RSRC2:TIDIG_COMP_CNT: 0
	.section	.text._ZN9rocsparseL22gebsrmvn_mxn_16_kernelILj80ELj10ELj8EdEEvi20rocsparse_direction_NS_24const_host_device_scalarIT2_EEPKiS6_PKS3_iiS8_S4_PS3_21rocsparse_index_base_b,"axG",@progbits,_ZN9rocsparseL22gebsrmvn_mxn_16_kernelILj80ELj10ELj8EdEEvi20rocsparse_direction_NS_24const_host_device_scalarIT2_EEPKiS6_PKS3_iiS8_S4_PS3_21rocsparse_index_base_b,comdat
	.globl	_ZN9rocsparseL22gebsrmvn_mxn_16_kernelILj80ELj10ELj8EdEEvi20rocsparse_direction_NS_24const_host_device_scalarIT2_EEPKiS6_PKS3_iiS8_S4_PS3_21rocsparse_index_base_b ; -- Begin function _ZN9rocsparseL22gebsrmvn_mxn_16_kernelILj80ELj10ELj8EdEEvi20rocsparse_direction_NS_24const_host_device_scalarIT2_EEPKiS6_PKS3_iiS8_S4_PS3_21rocsparse_index_base_b
	.p2align	8
	.type	_ZN9rocsparseL22gebsrmvn_mxn_16_kernelILj80ELj10ELj8EdEEvi20rocsparse_direction_NS_24const_host_device_scalarIT2_EEPKiS6_PKS3_iiS8_S4_PS3_21rocsparse_index_base_b,@function
_ZN9rocsparseL22gebsrmvn_mxn_16_kernelILj80ELj10ELj8EdEEvi20rocsparse_direction_NS_24const_host_device_scalarIT2_EEPKiS6_PKS3_iiS8_S4_PS3_21rocsparse_index_base_b: ; @_ZN9rocsparseL22gebsrmvn_mxn_16_kernelILj80ELj10ELj8EdEEvi20rocsparse_direction_NS_24const_host_device_scalarIT2_EEPKiS6_PKS3_iiS8_S4_PS3_21rocsparse_index_base_b
; %bb.0:
	s_load_dwordx2 s[10:11], s[4:5], 0x48
	s_load_dwordx2 s[8:9], s[4:5], 0x8
	;; [unrolled: 1-line block ×3, first 2 shown]
	s_waitcnt lgkmcnt(0)
	s_bitcmp1_b32 s11, 0
	s_cselect_b64 s[12:13], -1, 0
	v_mov_b32_e32 v3, s8
	s_xor_b64 s[2:3], s[12:13], -1
	s_and_b64 vcc, exec, s[12:13]
	v_mov_b32_e32 v4, s9
	s_cbranch_vccnz .LBB51_2
; %bb.1:
	v_mov_b32_e32 v1, s8
	v_mov_b32_e32 v2, s9
	flat_load_dwordx2 v[3:4], v[1:2]
.LBB51_2:
	v_mov_b32_e32 v2, s1
	s_andn2_b64 vcc, exec, s[2:3]
	v_mov_b32_e32 v1, s0
	s_cbranch_vccnz .LBB51_4
; %bb.3:
	v_mov_b32_e32 v2, s1
	v_mov_b32_e32 v1, s0
	flat_load_dwordx2 v[1:2], v[1:2]
.LBB51_4:
	s_waitcnt vmcnt(0) lgkmcnt(0)
	v_cmp_neq_f64_e32 vcc, 0, v[3:4]
	v_cmp_neq_f64_e64 s[0:1], 1.0, v[1:2]
	s_or_b64 s[0:1], vcc, s[0:1]
	s_and_saveexec_b64 s[2:3], s[0:1]
	s_cbranch_execz .LBB51_37
; %bb.5:
	s_load_dword s2, s[4:5], 0x4
	s_load_dwordx2 s[0:1], s[4:5], 0x10
	v_and_b32_e32 v11, 7, v0
	v_mov_b32_e32 v12, v11
	s_waitcnt lgkmcnt(0)
	s_cmp_lg_u32 s2, 1
	s_cselect_b64 s[12:13], -1, 0
	s_and_b64 vcc, exec, s[12:13]
	s_cbranch_vccnz .LBB51_7
; %bb.6:
	v_mul_u32_u24_e32 v5, 0x199a, v0
	v_bfe_u32 v12, v5, 16, 3
.LBB51_7:
	s_ashr_i32 s7, s6, 31
	s_lshl_b64 s[2:3], s[6:7], 2
	s_add_u32 s0, s0, s2
	s_addc_u32 s1, s1, s3
	s_load_dwordx2 s[16:17], s[0:1], 0x0
	s_load_dwordx2 s[8:9], s[4:5], 0x40
	v_mov_b32_e32 v5, 0
	v_mov_b32_e32 v6, 0
	s_waitcnt lgkmcnt(0)
	s_cmp_ge_i32 s16, s17
	s_cbranch_scc1 .LBB51_12
; %bb.8:
	s_load_dwordx4 s[0:3], s[4:5], 0x18
	s_load_dwordx2 s[14:15], s[4:5], 0x30
	s_mul_i32 s4, s16, 0x50
	v_add_u32_e32 v5, s4, v0
	s_mul_i32 s4, s10, 0x50
	v_subrev_u32_e32 v7, s4, v5
	v_mov_b32_e32 v5, 0
	s_sub_i32 s7, s17, s10
	s_sub_i32 s11, s16, s10
	v_mul_u32_u24_e32 v13, 0x334, v0
	v_mov_b32_e32 v6, 0
	v_mov_b32_e32 v8, 0
	s_branch .LBB51_10
.LBB51_9:                               ;   in Loop: Header=BB51_10 Depth=1
	s_or_b64 exec, exec, s[4:5]
	s_add_i32 s11, s11, 1
	s_cmp_ge_i32 s11, s7
	v_add_u32_e32 v7, 0x50, v7
	s_cbranch_scc1 .LBB51_12
.LBB51_10:                              ; =>This Inner Loop Header: Depth=1
	v_add_u32_sdwa v9, v13, s11 dst_sel:DWORD dst_unused:UNUSED_PAD src0_sel:WORD_1 src1_sel:DWORD
	v_cmp_gt_i32_e32 vcc, s7, v9
	s_and_saveexec_b64 s[4:5], vcc
	s_cbranch_execz .LBB51_9
; %bb.11:                               ;   in Loop: Header=BB51_10 Depth=1
	v_ashrrev_i32_e32 v10, 31, v9
	v_lshlrev_b64 v[9:10], 2, v[9:10]
	s_waitcnt lgkmcnt(0)
	v_mov_b32_e32 v14, s1
	v_add_co_u32_e32 v9, vcc, s0, v9
	v_addc_co_u32_e32 v10, vcc, v14, v10, vcc
	global_load_dword v14, v[9:10], off
	v_lshlrev_b64 v[9:10], 3, v[7:8]
	v_mov_b32_e32 v15, s3
	v_add_co_u32_e32 v9, vcc, s2, v9
	v_addc_co_u32_e32 v10, vcc, v15, v10, vcc
	v_mov_b32_e32 v16, s15
	global_load_dwordx2 v[9:10], v[9:10], off
	s_waitcnt vmcnt(1)
	v_subrev_u32_e32 v14, s10, v14
	v_lshl_or_b32 v14, v14, 3, v12
	v_ashrrev_i32_e32 v15, 31, v14
	v_lshlrev_b64 v[14:15], 3, v[14:15]
	v_add_co_u32_e32 v14, vcc, s14, v14
	v_addc_co_u32_e32 v15, vcc, v16, v15, vcc
	global_load_dwordx2 v[14:15], v[14:15], off
	s_waitcnt vmcnt(0)
	v_fma_f64 v[5:6], v[9:10], v[14:15], v[5:6]
	s_branch .LBB51_9
.LBB51_12:
	v_lshlrev_b32_e32 v9, 3, v0
	s_and_b64 vcc, exec, s[12:13]
	ds_write_b64 v9, v[5:6]
	s_waitcnt lgkmcnt(0)
	s_barrier
	s_cbranch_vccz .LBB51_22
; %bb.13:
	v_cmp_gt_u32_e32 vcc, 4, v11
	s_and_saveexec_b64 s[0:1], vcc
	s_cbranch_execz .LBB51_15
; %bb.14:
	ds_read2_b64 v[12:15], v9 offset1:4
	s_waitcnt lgkmcnt(0)
	v_add_f64 v[7:8], v[14:15], v[12:13]
	ds_write_b64 v9, v[7:8]
.LBB51_15:
	s_or_b64 exec, exec, s[0:1]
	v_cmp_gt_u32_e32 vcc, 2, v11
	s_waitcnt lgkmcnt(0)
	s_barrier
	s_and_saveexec_b64 s[0:1], vcc
	s_cbranch_execz .LBB51_17
; %bb.16:
	ds_read2_b64 v[12:15], v9 offset1:2
	s_waitcnt lgkmcnt(0)
	v_add_f64 v[7:8], v[14:15], v[12:13]
	ds_write_b64 v9, v[7:8]
.LBB51_17:
	s_or_b64 exec, exec, s[0:1]
	v_cmp_eq_u32_e32 vcc, 0, v11
	s_waitcnt lgkmcnt(0)
	s_barrier
	s_and_saveexec_b64 s[0:1], vcc
	s_cbranch_execz .LBB51_19
; %bb.18:
	ds_read2_b64 v[10:13], v9 offset1:1
	s_waitcnt lgkmcnt(0)
	v_add_f64 v[7:8], v[12:13], v[10:11]
	ds_write_b64 v9, v[7:8]
.LBB51_19:
	s_or_b64 exec, exec, s[0:1]
	v_mov_b32_e32 v8, v6
	v_cmp_gt_u32_e32 vcc, 10, v0
	v_mov_b32_e32 v7, v5
	s_waitcnt lgkmcnt(0)
	s_barrier
	s_and_saveexec_b64 s[0:1], vcc
; %bb.20:
	v_mad_u32_u24 v7, v0, 56, v9
	ds_read_b64 v[7:8], v7
; %bb.21:
	s_or_b64 exec, exec, s[0:1]
	s_branch .LBB51_32
.LBB51_22:
                                        ; implicit-def: $vgpr7_vgpr8
	s_cbranch_execz .LBB51_32
; %bb.23:
	v_cmp_gt_u32_e32 vcc, 40, v0
	s_and_saveexec_b64 s[0:1], vcc
	s_cbranch_execz .LBB51_25
; %bb.24:
	ds_read2_b64 v[10:13], v9 offset1:40
	s_waitcnt lgkmcnt(0)
	v_add_f64 v[7:8], v[12:13], v[10:11]
	ds_write_b64 v9, v[7:8]
.LBB51_25:
	s_or_b64 exec, exec, s[0:1]
	v_cmp_gt_u32_e32 vcc, 20, v0
	s_waitcnt lgkmcnt(0)
	s_barrier
	s_and_saveexec_b64 s[0:1], vcc
	s_cbranch_execz .LBB51_27
; %bb.26:
	ds_read2_b64 v[10:13], v9 offset1:20
	s_waitcnt lgkmcnt(0)
	v_add_f64 v[7:8], v[12:13], v[10:11]
	ds_write_b64 v9, v[7:8]
.LBB51_27:
	s_or_b64 exec, exec, s[0:1]
	v_cmp_lt_u32_e32 vcc, 9, v0
	s_waitcnt lgkmcnt(0)
	s_and_saveexec_b64 s[0:1], vcc
	s_xor_b64 s[0:1], exec, s[0:1]
; %bb.28:
                                        ; implicit-def: $vgpr9
; %bb.29:
	s_andn2_saveexec_b64 s[0:1], s[0:1]
	s_cbranch_execz .LBB51_31
; %bb.30:
	ds_read2_b64 v[5:8], v9 offset1:10
	s_waitcnt lgkmcnt(0)
	v_add_f64 v[5:6], v[7:8], v[5:6]
	ds_write_b64 v9, v[5:6]
	s_waitcnt lgkmcnt(0)
	ds_read_b64 v[5:6], v9
.LBB51_31:
	s_or_b64 exec, exec, s[0:1]
	s_waitcnt lgkmcnt(0)
	v_mov_b32_e32 v8, v6
	v_mov_b32_e32 v7, v5
.LBB51_32:
	v_cmp_gt_u32_e32 vcc, 10, v0
	s_and_b64 exec, exec, vcc
	s_cbranch_execz .LBB51_37
; %bb.33:
	v_cmp_eq_f64_e32 vcc, 0, v[1:2]
	s_waitcnt lgkmcnt(0)
	v_mul_f64 v[3:4], v[3:4], v[7:8]
	s_and_saveexec_b64 s[0:1], vcc
	s_xor_b64 s[0:1], exec, s[0:1]
	s_cbranch_execz .LBB51_35
; %bb.34:
	v_mad_u64_u32 v[0:1], s[2:3], s6, 10, v[0:1]
	v_mov_b32_e32 v1, 0
	v_mov_b32_e32 v2, s9
	v_lshlrev_b64 v[0:1], 3, v[0:1]
	v_add_co_u32_e32 v0, vcc, s8, v0
	v_addc_co_u32_e32 v1, vcc, v2, v1, vcc
	global_store_dwordx2 v[0:1], v[3:4], off
                                        ; implicit-def: $vgpr0
                                        ; implicit-def: $vgpr1_vgpr2
                                        ; implicit-def: $vgpr3_vgpr4
.LBB51_35:
	s_andn2_saveexec_b64 s[0:1], s[0:1]
	s_cbranch_execz .LBB51_37
; %bb.36:
	v_mad_u64_u32 v[5:6], s[0:1], s6, 10, v[0:1]
	v_mov_b32_e32 v6, 0
	v_mov_b32_e32 v0, s9
	v_lshlrev_b64 v[5:6], 3, v[5:6]
	v_add_co_u32_e32 v5, vcc, s8, v5
	v_addc_co_u32_e32 v6, vcc, v0, v6, vcc
	global_load_dwordx2 v[7:8], v[5:6], off
	s_waitcnt vmcnt(0)
	v_fma_f64 v[0:1], v[1:2], v[7:8], v[3:4]
	global_store_dwordx2 v[5:6], v[0:1], off
.LBB51_37:
	s_endpgm
	.section	.rodata,"a",@progbits
	.p2align	6, 0x0
	.amdhsa_kernel _ZN9rocsparseL22gebsrmvn_mxn_16_kernelILj80ELj10ELj8EdEEvi20rocsparse_direction_NS_24const_host_device_scalarIT2_EEPKiS6_PKS3_iiS8_S4_PS3_21rocsparse_index_base_b
		.amdhsa_group_segment_fixed_size 640
		.amdhsa_private_segment_fixed_size 0
		.amdhsa_kernarg_size 80
		.amdhsa_user_sgpr_count 6
		.amdhsa_user_sgpr_private_segment_buffer 1
		.amdhsa_user_sgpr_dispatch_ptr 0
		.amdhsa_user_sgpr_queue_ptr 0
		.amdhsa_user_sgpr_kernarg_segment_ptr 1
		.amdhsa_user_sgpr_dispatch_id 0
		.amdhsa_user_sgpr_flat_scratch_init 0
		.amdhsa_user_sgpr_private_segment_size 0
		.amdhsa_uses_dynamic_stack 0
		.amdhsa_system_sgpr_private_segment_wavefront_offset 0
		.amdhsa_system_sgpr_workgroup_id_x 1
		.amdhsa_system_sgpr_workgroup_id_y 0
		.amdhsa_system_sgpr_workgroup_id_z 0
		.amdhsa_system_sgpr_workgroup_info 0
		.amdhsa_system_vgpr_workitem_id 0
		.amdhsa_next_free_vgpr 17
		.amdhsa_next_free_sgpr 18
		.amdhsa_reserve_vcc 1
		.amdhsa_reserve_flat_scratch 0
		.amdhsa_float_round_mode_32 0
		.amdhsa_float_round_mode_16_64 0
		.amdhsa_float_denorm_mode_32 3
		.amdhsa_float_denorm_mode_16_64 3
		.amdhsa_dx10_clamp 1
		.amdhsa_ieee_mode 1
		.amdhsa_fp16_overflow 0
		.amdhsa_exception_fp_ieee_invalid_op 0
		.amdhsa_exception_fp_denorm_src 0
		.amdhsa_exception_fp_ieee_div_zero 0
		.amdhsa_exception_fp_ieee_overflow 0
		.amdhsa_exception_fp_ieee_underflow 0
		.amdhsa_exception_fp_ieee_inexact 0
		.amdhsa_exception_int_div_zero 0
	.end_amdhsa_kernel
	.section	.text._ZN9rocsparseL22gebsrmvn_mxn_16_kernelILj80ELj10ELj8EdEEvi20rocsparse_direction_NS_24const_host_device_scalarIT2_EEPKiS6_PKS3_iiS8_S4_PS3_21rocsparse_index_base_b,"axG",@progbits,_ZN9rocsparseL22gebsrmvn_mxn_16_kernelILj80ELj10ELj8EdEEvi20rocsparse_direction_NS_24const_host_device_scalarIT2_EEPKiS6_PKS3_iiS8_S4_PS3_21rocsparse_index_base_b,comdat
.Lfunc_end51:
	.size	_ZN9rocsparseL22gebsrmvn_mxn_16_kernelILj80ELj10ELj8EdEEvi20rocsparse_direction_NS_24const_host_device_scalarIT2_EEPKiS6_PKS3_iiS8_S4_PS3_21rocsparse_index_base_b, .Lfunc_end51-_ZN9rocsparseL22gebsrmvn_mxn_16_kernelILj80ELj10ELj8EdEEvi20rocsparse_direction_NS_24const_host_device_scalarIT2_EEPKiS6_PKS3_iiS8_S4_PS3_21rocsparse_index_base_b
                                        ; -- End function
	.set _ZN9rocsparseL22gebsrmvn_mxn_16_kernelILj80ELj10ELj8EdEEvi20rocsparse_direction_NS_24const_host_device_scalarIT2_EEPKiS6_PKS3_iiS8_S4_PS3_21rocsparse_index_base_b.num_vgpr, 17
	.set _ZN9rocsparseL22gebsrmvn_mxn_16_kernelILj80ELj10ELj8EdEEvi20rocsparse_direction_NS_24const_host_device_scalarIT2_EEPKiS6_PKS3_iiS8_S4_PS3_21rocsparse_index_base_b.num_agpr, 0
	.set _ZN9rocsparseL22gebsrmvn_mxn_16_kernelILj80ELj10ELj8EdEEvi20rocsparse_direction_NS_24const_host_device_scalarIT2_EEPKiS6_PKS3_iiS8_S4_PS3_21rocsparse_index_base_b.numbered_sgpr, 18
	.set _ZN9rocsparseL22gebsrmvn_mxn_16_kernelILj80ELj10ELj8EdEEvi20rocsparse_direction_NS_24const_host_device_scalarIT2_EEPKiS6_PKS3_iiS8_S4_PS3_21rocsparse_index_base_b.num_named_barrier, 0
	.set _ZN9rocsparseL22gebsrmvn_mxn_16_kernelILj80ELj10ELj8EdEEvi20rocsparse_direction_NS_24const_host_device_scalarIT2_EEPKiS6_PKS3_iiS8_S4_PS3_21rocsparse_index_base_b.private_seg_size, 0
	.set _ZN9rocsparseL22gebsrmvn_mxn_16_kernelILj80ELj10ELj8EdEEvi20rocsparse_direction_NS_24const_host_device_scalarIT2_EEPKiS6_PKS3_iiS8_S4_PS3_21rocsparse_index_base_b.uses_vcc, 1
	.set _ZN9rocsparseL22gebsrmvn_mxn_16_kernelILj80ELj10ELj8EdEEvi20rocsparse_direction_NS_24const_host_device_scalarIT2_EEPKiS6_PKS3_iiS8_S4_PS3_21rocsparse_index_base_b.uses_flat_scratch, 0
	.set _ZN9rocsparseL22gebsrmvn_mxn_16_kernelILj80ELj10ELj8EdEEvi20rocsparse_direction_NS_24const_host_device_scalarIT2_EEPKiS6_PKS3_iiS8_S4_PS3_21rocsparse_index_base_b.has_dyn_sized_stack, 0
	.set _ZN9rocsparseL22gebsrmvn_mxn_16_kernelILj80ELj10ELj8EdEEvi20rocsparse_direction_NS_24const_host_device_scalarIT2_EEPKiS6_PKS3_iiS8_S4_PS3_21rocsparse_index_base_b.has_recursion, 0
	.set _ZN9rocsparseL22gebsrmvn_mxn_16_kernelILj80ELj10ELj8EdEEvi20rocsparse_direction_NS_24const_host_device_scalarIT2_EEPKiS6_PKS3_iiS8_S4_PS3_21rocsparse_index_base_b.has_indirect_call, 0
	.section	.AMDGPU.csdata,"",@progbits
; Kernel info:
; codeLenInByte = 1044
; TotalNumSgprs: 22
; NumVgprs: 17
; ScratchSize: 0
; MemoryBound: 0
; FloatMode: 240
; IeeeMode: 1
; LDSByteSize: 640 bytes/workgroup (compile time only)
; SGPRBlocks: 2
; VGPRBlocks: 4
; NumSGPRsForWavesPerEU: 22
; NumVGPRsForWavesPerEU: 17
; Occupancy: 10
; WaveLimiterHint : 1
; COMPUTE_PGM_RSRC2:SCRATCH_EN: 0
; COMPUTE_PGM_RSRC2:USER_SGPR: 6
; COMPUTE_PGM_RSRC2:TRAP_HANDLER: 0
; COMPUTE_PGM_RSRC2:TGID_X_EN: 1
; COMPUTE_PGM_RSRC2:TGID_Y_EN: 0
; COMPUTE_PGM_RSRC2:TGID_Z_EN: 0
; COMPUTE_PGM_RSRC2:TIDIG_COMP_CNT: 0
	.section	.text._ZN9rocsparseL22gebsrmvn_mxn_16_kernelILj55ELj11ELj1EdEEvi20rocsparse_direction_NS_24const_host_device_scalarIT2_EEPKiS6_PKS3_iiS8_S4_PS3_21rocsparse_index_base_b,"axG",@progbits,_ZN9rocsparseL22gebsrmvn_mxn_16_kernelILj55ELj11ELj1EdEEvi20rocsparse_direction_NS_24const_host_device_scalarIT2_EEPKiS6_PKS3_iiS8_S4_PS3_21rocsparse_index_base_b,comdat
	.globl	_ZN9rocsparseL22gebsrmvn_mxn_16_kernelILj55ELj11ELj1EdEEvi20rocsparse_direction_NS_24const_host_device_scalarIT2_EEPKiS6_PKS3_iiS8_S4_PS3_21rocsparse_index_base_b ; -- Begin function _ZN9rocsparseL22gebsrmvn_mxn_16_kernelILj55ELj11ELj1EdEEvi20rocsparse_direction_NS_24const_host_device_scalarIT2_EEPKiS6_PKS3_iiS8_S4_PS3_21rocsparse_index_base_b
	.p2align	8
	.type	_ZN9rocsparseL22gebsrmvn_mxn_16_kernelILj55ELj11ELj1EdEEvi20rocsparse_direction_NS_24const_host_device_scalarIT2_EEPKiS6_PKS3_iiS8_S4_PS3_21rocsparse_index_base_b,@function
_ZN9rocsparseL22gebsrmvn_mxn_16_kernelILj55ELj11ELj1EdEEvi20rocsparse_direction_NS_24const_host_device_scalarIT2_EEPKiS6_PKS3_iiS8_S4_PS3_21rocsparse_index_base_b: ; @_ZN9rocsparseL22gebsrmvn_mxn_16_kernelILj55ELj11ELj1EdEEvi20rocsparse_direction_NS_24const_host_device_scalarIT2_EEPKiS6_PKS3_iiS8_S4_PS3_21rocsparse_index_base_b
; %bb.0:
	s_load_dwordx2 s[10:11], s[4:5], 0x48
	s_load_dwordx2 s[8:9], s[4:5], 0x8
	;; [unrolled: 1-line block ×3, first 2 shown]
	s_waitcnt lgkmcnt(0)
	s_bitcmp1_b32 s11, 0
	s_cselect_b64 s[12:13], -1, 0
	v_mov_b32_e32 v3, s8
	s_xor_b64 s[2:3], s[12:13], -1
	s_and_b64 vcc, exec, s[12:13]
	v_mov_b32_e32 v4, s9
	s_cbranch_vccnz .LBB52_2
; %bb.1:
	v_mov_b32_e32 v1, s8
	v_mov_b32_e32 v2, s9
	flat_load_dwordx2 v[3:4], v[1:2]
.LBB52_2:
	v_mov_b32_e32 v2, s1
	s_andn2_b64 vcc, exec, s[2:3]
	v_mov_b32_e32 v1, s0
	s_cbranch_vccnz .LBB52_4
; %bb.3:
	v_mov_b32_e32 v2, s1
	v_mov_b32_e32 v1, s0
	flat_load_dwordx2 v[1:2], v[1:2]
.LBB52_4:
	s_waitcnt vmcnt(0) lgkmcnt(0)
	v_cmp_neq_f64_e32 vcc, 0, v[3:4]
	v_cmp_neq_f64_e64 s[0:1], 1.0, v[1:2]
	s_or_b64 s[0:1], vcc, s[0:1]
	s_and_saveexec_b64 s[2:3], s[0:1]
	s_cbranch_execz .LBB52_24
; %bb.5:
	s_load_dwordx2 s[0:1], s[4:5], 0x10
	s_ashr_i32 s7, s6, 31
	s_lshl_b64 s[2:3], s[6:7], 2
	s_waitcnt lgkmcnt(0)
	s_add_u32 s0, s0, s2
	s_addc_u32 s1, s1, s3
	s_load_dwordx2 s[14:15], s[0:1], 0x0
	s_waitcnt lgkmcnt(0)
	s_cmp_lt_i32 s14, s15
	s_cbranch_scc1 .LBB52_7
; %bb.6:
	s_mov_b64 s[0:1], 0
	s_branch .LBB52_8
.LBB52_7:
	s_mov_b64 s[0:1], -1
.LBB52_8:
	s_load_dwordx2 s[8:9], s[4:5], 0x40
	v_mov_b32_e32 v5, 0
	v_mov_b32_e32 v6, 0
	s_andn2_b64 vcc, exec, s[0:1]
	s_cbranch_vccnz .LBB52_13
; %bb.9:
	s_load_dwordx4 s[0:3], s[4:5], 0x18
	s_load_dwordx2 s[12:13], s[4:5], 0x30
	v_mad_u64_u32 v[5:6], s[4:5], s14, 11, v[0:1]
	s_mul_i32 s4, s10, 11
	s_sub_i32 s7, s15, s10
	v_subrev_u32_e32 v7, s4, v5
	v_mov_b32_e32 v5, 0
	s_sub_i32 s11, s14, s10
	v_mul_u32_u24_e32 v11, 0x1746, v0
	v_mov_b32_e32 v6, 0
	v_mov_b32_e32 v8, 0
	s_branch .LBB52_11
.LBB52_10:                              ;   in Loop: Header=BB52_11 Depth=1
	s_or_b64 exec, exec, s[4:5]
	s_add_i32 s11, s11, 5
	s_cmp_ge_i32 s11, s7
	v_add_u32_e32 v7, 55, v7
	s_cbranch_scc1 .LBB52_13
.LBB52_11:                              ; =>This Inner Loop Header: Depth=1
	v_add_u32_sdwa v9, v11, s11 dst_sel:DWORD dst_unused:UNUSED_PAD src0_sel:WORD_1 src1_sel:DWORD
	v_cmp_gt_i32_e32 vcc, s7, v9
	s_and_saveexec_b64 s[4:5], vcc
	s_cbranch_execz .LBB52_10
; %bb.12:                               ;   in Loop: Header=BB52_11 Depth=1
	v_ashrrev_i32_e32 v10, 31, v9
	v_lshlrev_b64 v[9:10], 2, v[9:10]
	s_waitcnt lgkmcnt(0)
	v_mov_b32_e32 v12, s1
	v_add_co_u32_e32 v9, vcc, s0, v9
	v_addc_co_u32_e32 v10, vcc, v12, v10, vcc
	global_load_dword v12, v[9:10], off
	v_lshlrev_b64 v[9:10], 3, v[7:8]
	v_mov_b32_e32 v13, s3
	v_add_co_u32_e32 v9, vcc, s2, v9
	v_addc_co_u32_e32 v10, vcc, v13, v10, vcc
	v_mov_b32_e32 v14, s13
	global_load_dwordx2 v[9:10], v[9:10], off
	s_waitcnt vmcnt(1)
	v_subrev_u32_e32 v12, s10, v12
	v_ashrrev_i32_e32 v13, 31, v12
	v_lshlrev_b64 v[12:13], 3, v[12:13]
	v_add_co_u32_e32 v12, vcc, s12, v12
	v_addc_co_u32_e32 v13, vcc, v14, v13, vcc
	global_load_dwordx2 v[12:13], v[12:13], off
	s_waitcnt vmcnt(0)
	v_fma_f64 v[5:6], v[9:10], v[12:13], v[5:6]
	s_branch .LBB52_10
.LBB52_13:
	v_lshlrev_b32_e32 v7, 3, v0
	v_cmp_gt_u32_e32 vcc, 11, v0
	ds_write_b64 v7, v[5:6]
	s_waitcnt lgkmcnt(0)
	; wave barrier
	s_and_saveexec_b64 s[0:1], vcc
	s_cbranch_execz .LBB52_15
; %bb.14:
	ds_read2_b64 v[8:11], v7 offset1:44
	s_waitcnt lgkmcnt(0)
	v_add_f64 v[5:6], v[10:11], v[8:9]
	ds_write_b64 v7, v[5:6]
.LBB52_15:
	s_or_b64 exec, exec, s[0:1]
	v_cmp_gt_u32_e64 s[0:1], 22, v0
	s_waitcnt lgkmcnt(0)
	; wave barrier
	s_and_saveexec_b64 s[2:3], s[0:1]
	s_cbranch_execz .LBB52_17
; %bb.16:
	ds_read2_b64 v[8:11], v7 offset1:22
	s_waitcnt lgkmcnt(0)
	v_add_f64 v[5:6], v[10:11], v[8:9]
	ds_write_b64 v7, v[5:6]
.LBB52_17:
	s_or_b64 exec, exec, s[2:3]
	s_waitcnt lgkmcnt(0)
	; wave barrier
	s_and_saveexec_b64 s[0:1], vcc
	s_cbranch_execz .LBB52_19
; %bb.18:
	ds_read2_b64 v[8:11], v7 offset1:11
	s_waitcnt lgkmcnt(0)
	v_add_f64 v[5:6], v[10:11], v[8:9]
	ds_write_b64 v7, v[5:6]
.LBB52_19:
	s_or_b64 exec, exec, s[0:1]
	s_waitcnt lgkmcnt(0)
	; wave barrier
	s_and_b64 exec, exec, vcc
	s_cbranch_execz .LBB52_24
; %bb.20:
	ds_read_b64 v[5:6], v7
	v_cmp_eq_f64_e32 vcc, 0, v[1:2]
	s_waitcnt lgkmcnt(0)
	v_mul_f64 v[3:4], v[3:4], v[5:6]
	s_and_saveexec_b64 s[0:1], vcc
	s_xor_b64 s[0:1], exec, s[0:1]
	s_cbranch_execz .LBB52_22
; %bb.21:
	v_mad_u64_u32 v[0:1], s[2:3], s6, 11, v[0:1]
	v_mov_b32_e32 v1, 0
	v_mov_b32_e32 v2, s9
	v_lshlrev_b64 v[0:1], 3, v[0:1]
	v_add_co_u32_e32 v0, vcc, s8, v0
	v_addc_co_u32_e32 v1, vcc, v2, v1, vcc
	global_store_dwordx2 v[0:1], v[3:4], off
                                        ; implicit-def: $vgpr0
                                        ; implicit-def: $vgpr1_vgpr2
                                        ; implicit-def: $vgpr3_vgpr4
.LBB52_22:
	s_andn2_saveexec_b64 s[0:1], s[0:1]
	s_cbranch_execz .LBB52_24
; %bb.23:
	v_mad_u64_u32 v[5:6], s[0:1], s6, 11, v[0:1]
	v_mov_b32_e32 v6, 0
	v_mov_b32_e32 v0, s9
	v_lshlrev_b64 v[5:6], 3, v[5:6]
	v_add_co_u32_e32 v5, vcc, s8, v5
	v_addc_co_u32_e32 v6, vcc, v0, v6, vcc
	global_load_dwordx2 v[7:8], v[5:6], off
	s_waitcnt vmcnt(0)
	v_fma_f64 v[0:1], v[1:2], v[7:8], v[3:4]
	global_store_dwordx2 v[5:6], v[0:1], off
.LBB52_24:
	s_endpgm
	.section	.rodata,"a",@progbits
	.p2align	6, 0x0
	.amdhsa_kernel _ZN9rocsparseL22gebsrmvn_mxn_16_kernelILj55ELj11ELj1EdEEvi20rocsparse_direction_NS_24const_host_device_scalarIT2_EEPKiS6_PKS3_iiS8_S4_PS3_21rocsparse_index_base_b
		.amdhsa_group_segment_fixed_size 440
		.amdhsa_private_segment_fixed_size 0
		.amdhsa_kernarg_size 80
		.amdhsa_user_sgpr_count 6
		.amdhsa_user_sgpr_private_segment_buffer 1
		.amdhsa_user_sgpr_dispatch_ptr 0
		.amdhsa_user_sgpr_queue_ptr 0
		.amdhsa_user_sgpr_kernarg_segment_ptr 1
		.amdhsa_user_sgpr_dispatch_id 0
		.amdhsa_user_sgpr_flat_scratch_init 0
		.amdhsa_user_sgpr_private_segment_size 0
		.amdhsa_uses_dynamic_stack 0
		.amdhsa_system_sgpr_private_segment_wavefront_offset 0
		.amdhsa_system_sgpr_workgroup_id_x 1
		.amdhsa_system_sgpr_workgroup_id_y 0
		.amdhsa_system_sgpr_workgroup_id_z 0
		.amdhsa_system_sgpr_workgroup_info 0
		.amdhsa_system_vgpr_workitem_id 0
		.amdhsa_next_free_vgpr 15
		.amdhsa_next_free_sgpr 16
		.amdhsa_reserve_vcc 1
		.amdhsa_reserve_flat_scratch 0
		.amdhsa_float_round_mode_32 0
		.amdhsa_float_round_mode_16_64 0
		.amdhsa_float_denorm_mode_32 3
		.amdhsa_float_denorm_mode_16_64 3
		.amdhsa_dx10_clamp 1
		.amdhsa_ieee_mode 1
		.amdhsa_fp16_overflow 0
		.amdhsa_exception_fp_ieee_invalid_op 0
		.amdhsa_exception_fp_denorm_src 0
		.amdhsa_exception_fp_ieee_div_zero 0
		.amdhsa_exception_fp_ieee_overflow 0
		.amdhsa_exception_fp_ieee_underflow 0
		.amdhsa_exception_fp_ieee_inexact 0
		.amdhsa_exception_int_div_zero 0
	.end_amdhsa_kernel
	.section	.text._ZN9rocsparseL22gebsrmvn_mxn_16_kernelILj55ELj11ELj1EdEEvi20rocsparse_direction_NS_24const_host_device_scalarIT2_EEPKiS6_PKS3_iiS8_S4_PS3_21rocsparse_index_base_b,"axG",@progbits,_ZN9rocsparseL22gebsrmvn_mxn_16_kernelILj55ELj11ELj1EdEEvi20rocsparse_direction_NS_24const_host_device_scalarIT2_EEPKiS6_PKS3_iiS8_S4_PS3_21rocsparse_index_base_b,comdat
.Lfunc_end52:
	.size	_ZN9rocsparseL22gebsrmvn_mxn_16_kernelILj55ELj11ELj1EdEEvi20rocsparse_direction_NS_24const_host_device_scalarIT2_EEPKiS6_PKS3_iiS8_S4_PS3_21rocsparse_index_base_b, .Lfunc_end52-_ZN9rocsparseL22gebsrmvn_mxn_16_kernelILj55ELj11ELj1EdEEvi20rocsparse_direction_NS_24const_host_device_scalarIT2_EEPKiS6_PKS3_iiS8_S4_PS3_21rocsparse_index_base_b
                                        ; -- End function
	.set _ZN9rocsparseL22gebsrmvn_mxn_16_kernelILj55ELj11ELj1EdEEvi20rocsparse_direction_NS_24const_host_device_scalarIT2_EEPKiS6_PKS3_iiS8_S4_PS3_21rocsparse_index_base_b.num_vgpr, 15
	.set _ZN9rocsparseL22gebsrmvn_mxn_16_kernelILj55ELj11ELj1EdEEvi20rocsparse_direction_NS_24const_host_device_scalarIT2_EEPKiS6_PKS3_iiS8_S4_PS3_21rocsparse_index_base_b.num_agpr, 0
	.set _ZN9rocsparseL22gebsrmvn_mxn_16_kernelILj55ELj11ELj1EdEEvi20rocsparse_direction_NS_24const_host_device_scalarIT2_EEPKiS6_PKS3_iiS8_S4_PS3_21rocsparse_index_base_b.numbered_sgpr, 16
	.set _ZN9rocsparseL22gebsrmvn_mxn_16_kernelILj55ELj11ELj1EdEEvi20rocsparse_direction_NS_24const_host_device_scalarIT2_EEPKiS6_PKS3_iiS8_S4_PS3_21rocsparse_index_base_b.num_named_barrier, 0
	.set _ZN9rocsparseL22gebsrmvn_mxn_16_kernelILj55ELj11ELj1EdEEvi20rocsparse_direction_NS_24const_host_device_scalarIT2_EEPKiS6_PKS3_iiS8_S4_PS3_21rocsparse_index_base_b.private_seg_size, 0
	.set _ZN9rocsparseL22gebsrmvn_mxn_16_kernelILj55ELj11ELj1EdEEvi20rocsparse_direction_NS_24const_host_device_scalarIT2_EEPKiS6_PKS3_iiS8_S4_PS3_21rocsparse_index_base_b.uses_vcc, 1
	.set _ZN9rocsparseL22gebsrmvn_mxn_16_kernelILj55ELj11ELj1EdEEvi20rocsparse_direction_NS_24const_host_device_scalarIT2_EEPKiS6_PKS3_iiS8_S4_PS3_21rocsparse_index_base_b.uses_flat_scratch, 0
	.set _ZN9rocsparseL22gebsrmvn_mxn_16_kernelILj55ELj11ELj1EdEEvi20rocsparse_direction_NS_24const_host_device_scalarIT2_EEPKiS6_PKS3_iiS8_S4_PS3_21rocsparse_index_base_b.has_dyn_sized_stack, 0
	.set _ZN9rocsparseL22gebsrmvn_mxn_16_kernelILj55ELj11ELj1EdEEvi20rocsparse_direction_NS_24const_host_device_scalarIT2_EEPKiS6_PKS3_iiS8_S4_PS3_21rocsparse_index_base_b.has_recursion, 0
	.set _ZN9rocsparseL22gebsrmvn_mxn_16_kernelILj55ELj11ELj1EdEEvi20rocsparse_direction_NS_24const_host_device_scalarIT2_EEPKiS6_PKS3_iiS8_S4_PS3_21rocsparse_index_base_b.has_indirect_call, 0
	.section	.AMDGPU.csdata,"",@progbits
; Kernel info:
; codeLenInByte = 756
; TotalNumSgprs: 20
; NumVgprs: 15
; ScratchSize: 0
; MemoryBound: 0
; FloatMode: 240
; IeeeMode: 1
; LDSByteSize: 440 bytes/workgroup (compile time only)
; SGPRBlocks: 2
; VGPRBlocks: 3
; NumSGPRsForWavesPerEU: 20
; NumVGPRsForWavesPerEU: 15
; Occupancy: 10
; WaveLimiterHint : 1
; COMPUTE_PGM_RSRC2:SCRATCH_EN: 0
; COMPUTE_PGM_RSRC2:USER_SGPR: 6
; COMPUTE_PGM_RSRC2:TRAP_HANDLER: 0
; COMPUTE_PGM_RSRC2:TGID_X_EN: 1
; COMPUTE_PGM_RSRC2:TGID_Y_EN: 0
; COMPUTE_PGM_RSRC2:TGID_Z_EN: 0
; COMPUTE_PGM_RSRC2:TIDIG_COMP_CNT: 0
	.section	.text._ZN9rocsparseL22gebsrmvn_mxn_16_kernelILj44ELj11ELj2EdEEvi20rocsparse_direction_NS_24const_host_device_scalarIT2_EEPKiS6_PKS3_iiS8_S4_PS3_21rocsparse_index_base_b,"axG",@progbits,_ZN9rocsparseL22gebsrmvn_mxn_16_kernelILj44ELj11ELj2EdEEvi20rocsparse_direction_NS_24const_host_device_scalarIT2_EEPKiS6_PKS3_iiS8_S4_PS3_21rocsparse_index_base_b,comdat
	.globl	_ZN9rocsparseL22gebsrmvn_mxn_16_kernelILj44ELj11ELj2EdEEvi20rocsparse_direction_NS_24const_host_device_scalarIT2_EEPKiS6_PKS3_iiS8_S4_PS3_21rocsparse_index_base_b ; -- Begin function _ZN9rocsparseL22gebsrmvn_mxn_16_kernelILj44ELj11ELj2EdEEvi20rocsparse_direction_NS_24const_host_device_scalarIT2_EEPKiS6_PKS3_iiS8_S4_PS3_21rocsparse_index_base_b
	.p2align	8
	.type	_ZN9rocsparseL22gebsrmvn_mxn_16_kernelILj44ELj11ELj2EdEEvi20rocsparse_direction_NS_24const_host_device_scalarIT2_EEPKiS6_PKS3_iiS8_S4_PS3_21rocsparse_index_base_b,@function
_ZN9rocsparseL22gebsrmvn_mxn_16_kernelILj44ELj11ELj2EdEEvi20rocsparse_direction_NS_24const_host_device_scalarIT2_EEPKiS6_PKS3_iiS8_S4_PS3_21rocsparse_index_base_b: ; @_ZN9rocsparseL22gebsrmvn_mxn_16_kernelILj44ELj11ELj2EdEEvi20rocsparse_direction_NS_24const_host_device_scalarIT2_EEPKiS6_PKS3_iiS8_S4_PS3_21rocsparse_index_base_b
; %bb.0:
	s_load_dwordx2 s[10:11], s[4:5], 0x48
	s_load_dwordx2 s[8:9], s[4:5], 0x8
	s_load_dwordx2 s[0:1], s[4:5], 0x38
	s_waitcnt lgkmcnt(0)
	s_bitcmp1_b32 s11, 0
	s_cselect_b64 s[12:13], -1, 0
	v_mov_b32_e32 v3, s8
	s_xor_b64 s[2:3], s[12:13], -1
	s_and_b64 vcc, exec, s[12:13]
	v_mov_b32_e32 v4, s9
	s_cbranch_vccnz .LBB53_2
; %bb.1:
	v_mov_b32_e32 v1, s8
	v_mov_b32_e32 v2, s9
	flat_load_dwordx2 v[3:4], v[1:2]
.LBB53_2:
	v_mov_b32_e32 v2, s1
	s_andn2_b64 vcc, exec, s[2:3]
	v_mov_b32_e32 v1, s0
	s_cbranch_vccnz .LBB53_4
; %bb.3:
	v_mov_b32_e32 v2, s1
	v_mov_b32_e32 v1, s0
	flat_load_dwordx2 v[1:2], v[1:2]
.LBB53_4:
	s_waitcnt vmcnt(0) lgkmcnt(0)
	v_cmp_neq_f64_e32 vcc, 0, v[3:4]
	v_cmp_neq_f64_e64 s[0:1], 1.0, v[1:2]
	s_or_b64 s[0:1], vcc, s[0:1]
	s_and_saveexec_b64 s[2:3], s[0:1]
	s_cbranch_execz .LBB53_31
; %bb.5:
	s_load_dword s2, s[4:5], 0x4
	s_load_dwordx2 s[0:1], s[4:5], 0x10
	v_and_b32_e32 v11, 1, v0
	v_mov_b32_e32 v12, v11
	s_waitcnt lgkmcnt(0)
	s_cmp_lg_u32 s2, 1
	s_cselect_b64 s[12:13], -1, 0
	s_and_b64 vcc, exec, s[12:13]
	s_cbranch_vccnz .LBB53_7
; %bb.6:
	v_mul_u32_u24_e32 v5, 0x1746, v0
	v_bfe_u32 v12, v5, 16, 1
.LBB53_7:
	s_ashr_i32 s7, s6, 31
	s_lshl_b64 s[2:3], s[6:7], 2
	s_add_u32 s0, s0, s2
	s_addc_u32 s1, s1, s3
	s_load_dwordx2 s[16:17], s[0:1], 0x0
	s_load_dwordx2 s[8:9], s[4:5], 0x40
	v_mov_b32_e32 v5, 0
	v_mov_b32_e32 v6, 0
	s_waitcnt lgkmcnt(0)
	s_cmp_ge_i32 s16, s17
	s_cbranch_scc1 .LBB53_12
; %bb.8:
	s_load_dwordx4 s[0:3], s[4:5], 0x18
	s_load_dwordx2 s[14:15], s[4:5], 0x30
	v_mad_u64_u32 v[5:6], s[4:5], s16, 22, v[0:1]
	s_mul_i32 s4, s10, 22
	s_sub_i32 s7, s17, s10
	v_subrev_u32_e32 v7, s4, v5
	v_mov_b32_e32 v5, 0
	s_sub_i32 s11, s16, s10
	v_mul_u32_u24_e32 v13, 0xba3, v0
	v_mov_b32_e32 v6, 0
	v_mov_b32_e32 v8, 0
	s_branch .LBB53_10
.LBB53_9:                               ;   in Loop: Header=BB53_10 Depth=1
	s_or_b64 exec, exec, s[4:5]
	s_add_i32 s11, s11, 2
	s_cmp_ge_i32 s11, s7
	v_add_u32_e32 v7, 44, v7
	s_cbranch_scc1 .LBB53_12
.LBB53_10:                              ; =>This Inner Loop Header: Depth=1
	v_add_u32_sdwa v9, v13, s11 dst_sel:DWORD dst_unused:UNUSED_PAD src0_sel:WORD_1 src1_sel:DWORD
	v_cmp_gt_i32_e32 vcc, s7, v9
	s_and_saveexec_b64 s[4:5], vcc
	s_cbranch_execz .LBB53_9
; %bb.11:                               ;   in Loop: Header=BB53_10 Depth=1
	v_ashrrev_i32_e32 v10, 31, v9
	v_lshlrev_b64 v[9:10], 2, v[9:10]
	s_waitcnt lgkmcnt(0)
	v_mov_b32_e32 v14, s1
	v_add_co_u32_e32 v9, vcc, s0, v9
	v_addc_co_u32_e32 v10, vcc, v14, v10, vcc
	global_load_dword v14, v[9:10], off
	v_lshlrev_b64 v[9:10], 3, v[7:8]
	v_mov_b32_e32 v15, s3
	v_add_co_u32_e32 v9, vcc, s2, v9
	v_addc_co_u32_e32 v10, vcc, v15, v10, vcc
	v_mov_b32_e32 v16, s15
	global_load_dwordx2 v[9:10], v[9:10], off
	s_waitcnt vmcnt(1)
	v_subrev_u32_e32 v14, s10, v14
	v_lshl_or_b32 v14, v14, 1, v12
	v_ashrrev_i32_e32 v15, 31, v14
	v_lshlrev_b64 v[14:15], 3, v[14:15]
	v_add_co_u32_e32 v14, vcc, s14, v14
	v_addc_co_u32_e32 v15, vcc, v16, v15, vcc
	global_load_dwordx2 v[14:15], v[14:15], off
	s_waitcnt vmcnt(0)
	v_fma_f64 v[5:6], v[9:10], v[14:15], v[5:6]
	s_branch .LBB53_9
.LBB53_12:
	v_lshlrev_b32_e32 v9, 3, v0
	v_cmp_gt_u32_e32 vcc, 22, v0
	ds_write_b64 v9, v[5:6]
	s_waitcnt lgkmcnt(0)
	; wave barrier
	s_and_saveexec_b64 s[0:1], vcc
	s_cbranch_execz .LBB53_14
; %bb.13:
	ds_read2_b64 v[12:15], v9 offset1:22
	s_waitcnt lgkmcnt(0)
	v_add_f64 v[7:8], v[14:15], v[12:13]
	ds_write_b64 v9, v[7:8]
.LBB53_14:
	s_or_b64 exec, exec, s[0:1]
	s_and_b64 vcc, exec, s[12:13]
	s_waitcnt lgkmcnt(0)
	; wave barrier
	s_cbranch_vccz .LBB53_20
; %bb.15:
	v_cmp_eq_u32_e32 vcc, 0, v11
	s_and_saveexec_b64 s[0:1], vcc
	s_cbranch_execz .LBB53_17
; %bb.16:
	ds_read2_b64 v[10:13], v9 offset1:1
	s_waitcnt lgkmcnt(0)
	v_add_f64 v[7:8], v[12:13], v[10:11]
	ds_write_b64 v9, v[7:8]
.LBB53_17:
	s_or_b64 exec, exec, s[0:1]
	v_mov_b32_e32 v8, v6
	v_cmp_gt_u32_e32 vcc, 11, v0
	v_mov_b32_e32 v7, v5
	s_waitcnt lgkmcnt(0)
	; wave barrier
	s_and_saveexec_b64 s[0:1], vcc
; %bb.18:
	v_lshl_add_u32 v7, v0, 3, v9
	ds_read_b64 v[7:8], v7
; %bb.19:
	s_or_b64 exec, exec, s[0:1]
	s_branch .LBB53_26
.LBB53_20:
                                        ; implicit-def: $vgpr7_vgpr8
	s_cbranch_execz .LBB53_26
; %bb.21:
	v_cmp_lt_u32_e32 vcc, 10, v0
	s_and_saveexec_b64 s[0:1], vcc
	s_xor_b64 s[0:1], exec, s[0:1]
	s_cbranch_execz .LBB53_23
; %bb.22:
	s_waitcnt lgkmcnt(0)
                                        ; implicit-def: $vgpr9
.LBB53_23:
	s_andn2_saveexec_b64 s[0:1], s[0:1]
	s_cbranch_execz .LBB53_25
; %bb.24:
	s_waitcnt lgkmcnt(0)
	ds_read2_b64 v[5:8], v9 offset1:11
	s_waitcnt lgkmcnt(0)
	v_add_f64 v[5:6], v[7:8], v[5:6]
	ds_write_b64 v9, v[5:6]
	s_waitcnt lgkmcnt(0)
	ds_read_b64 v[5:6], v9
.LBB53_25:
	s_or_b64 exec, exec, s[0:1]
	s_waitcnt lgkmcnt(0)
	v_mov_b32_e32 v8, v6
	v_mov_b32_e32 v7, v5
.LBB53_26:
	v_cmp_gt_u32_e32 vcc, 11, v0
	s_and_b64 exec, exec, vcc
	s_cbranch_execz .LBB53_31
; %bb.27:
	v_cmp_eq_f64_e32 vcc, 0, v[1:2]
	s_waitcnt lgkmcnt(0)
	v_mul_f64 v[3:4], v[3:4], v[7:8]
	s_and_saveexec_b64 s[0:1], vcc
	s_xor_b64 s[0:1], exec, s[0:1]
	s_cbranch_execz .LBB53_29
; %bb.28:
	v_mad_u64_u32 v[0:1], s[2:3], s6, 11, v[0:1]
	v_mov_b32_e32 v1, 0
	v_mov_b32_e32 v2, s9
	v_lshlrev_b64 v[0:1], 3, v[0:1]
	v_add_co_u32_e32 v0, vcc, s8, v0
	v_addc_co_u32_e32 v1, vcc, v2, v1, vcc
	global_store_dwordx2 v[0:1], v[3:4], off
                                        ; implicit-def: $vgpr0
                                        ; implicit-def: $vgpr1_vgpr2
                                        ; implicit-def: $vgpr3_vgpr4
.LBB53_29:
	s_andn2_saveexec_b64 s[0:1], s[0:1]
	s_cbranch_execz .LBB53_31
; %bb.30:
	v_mad_u64_u32 v[5:6], s[0:1], s6, 11, v[0:1]
	v_mov_b32_e32 v6, 0
	v_mov_b32_e32 v0, s9
	v_lshlrev_b64 v[5:6], 3, v[5:6]
	v_add_co_u32_e32 v5, vcc, s8, v5
	v_addc_co_u32_e32 v6, vcc, v0, v6, vcc
	global_load_dwordx2 v[7:8], v[5:6], off
	s_waitcnt vmcnt(0)
	v_fma_f64 v[0:1], v[1:2], v[7:8], v[3:4]
	global_store_dwordx2 v[5:6], v[0:1], off
.LBB53_31:
	s_endpgm
	.section	.rodata,"a",@progbits
	.p2align	6, 0x0
	.amdhsa_kernel _ZN9rocsparseL22gebsrmvn_mxn_16_kernelILj44ELj11ELj2EdEEvi20rocsparse_direction_NS_24const_host_device_scalarIT2_EEPKiS6_PKS3_iiS8_S4_PS3_21rocsparse_index_base_b
		.amdhsa_group_segment_fixed_size 352
		.amdhsa_private_segment_fixed_size 0
		.amdhsa_kernarg_size 80
		.amdhsa_user_sgpr_count 6
		.amdhsa_user_sgpr_private_segment_buffer 1
		.amdhsa_user_sgpr_dispatch_ptr 0
		.amdhsa_user_sgpr_queue_ptr 0
		.amdhsa_user_sgpr_kernarg_segment_ptr 1
		.amdhsa_user_sgpr_dispatch_id 0
		.amdhsa_user_sgpr_flat_scratch_init 0
		.amdhsa_user_sgpr_private_segment_size 0
		.amdhsa_uses_dynamic_stack 0
		.amdhsa_system_sgpr_private_segment_wavefront_offset 0
		.amdhsa_system_sgpr_workgroup_id_x 1
		.amdhsa_system_sgpr_workgroup_id_y 0
		.amdhsa_system_sgpr_workgroup_id_z 0
		.amdhsa_system_sgpr_workgroup_info 0
		.amdhsa_system_vgpr_workitem_id 0
		.amdhsa_next_free_vgpr 17
		.amdhsa_next_free_sgpr 18
		.amdhsa_reserve_vcc 1
		.amdhsa_reserve_flat_scratch 0
		.amdhsa_float_round_mode_32 0
		.amdhsa_float_round_mode_16_64 0
		.amdhsa_float_denorm_mode_32 3
		.amdhsa_float_denorm_mode_16_64 3
		.amdhsa_dx10_clamp 1
		.amdhsa_ieee_mode 1
		.amdhsa_fp16_overflow 0
		.amdhsa_exception_fp_ieee_invalid_op 0
		.amdhsa_exception_fp_denorm_src 0
		.amdhsa_exception_fp_ieee_div_zero 0
		.amdhsa_exception_fp_ieee_overflow 0
		.amdhsa_exception_fp_ieee_underflow 0
		.amdhsa_exception_fp_ieee_inexact 0
		.amdhsa_exception_int_div_zero 0
	.end_amdhsa_kernel
	.section	.text._ZN9rocsparseL22gebsrmvn_mxn_16_kernelILj44ELj11ELj2EdEEvi20rocsparse_direction_NS_24const_host_device_scalarIT2_EEPKiS6_PKS3_iiS8_S4_PS3_21rocsparse_index_base_b,"axG",@progbits,_ZN9rocsparseL22gebsrmvn_mxn_16_kernelILj44ELj11ELj2EdEEvi20rocsparse_direction_NS_24const_host_device_scalarIT2_EEPKiS6_PKS3_iiS8_S4_PS3_21rocsparse_index_base_b,comdat
.Lfunc_end53:
	.size	_ZN9rocsparseL22gebsrmvn_mxn_16_kernelILj44ELj11ELj2EdEEvi20rocsparse_direction_NS_24const_host_device_scalarIT2_EEPKiS6_PKS3_iiS8_S4_PS3_21rocsparse_index_base_b, .Lfunc_end53-_ZN9rocsparseL22gebsrmvn_mxn_16_kernelILj44ELj11ELj2EdEEvi20rocsparse_direction_NS_24const_host_device_scalarIT2_EEPKiS6_PKS3_iiS8_S4_PS3_21rocsparse_index_base_b
                                        ; -- End function
	.set _ZN9rocsparseL22gebsrmvn_mxn_16_kernelILj44ELj11ELj2EdEEvi20rocsparse_direction_NS_24const_host_device_scalarIT2_EEPKiS6_PKS3_iiS8_S4_PS3_21rocsparse_index_base_b.num_vgpr, 17
	.set _ZN9rocsparseL22gebsrmvn_mxn_16_kernelILj44ELj11ELj2EdEEvi20rocsparse_direction_NS_24const_host_device_scalarIT2_EEPKiS6_PKS3_iiS8_S4_PS3_21rocsparse_index_base_b.num_agpr, 0
	.set _ZN9rocsparseL22gebsrmvn_mxn_16_kernelILj44ELj11ELj2EdEEvi20rocsparse_direction_NS_24const_host_device_scalarIT2_EEPKiS6_PKS3_iiS8_S4_PS3_21rocsparse_index_base_b.numbered_sgpr, 18
	.set _ZN9rocsparseL22gebsrmvn_mxn_16_kernelILj44ELj11ELj2EdEEvi20rocsparse_direction_NS_24const_host_device_scalarIT2_EEPKiS6_PKS3_iiS8_S4_PS3_21rocsparse_index_base_b.num_named_barrier, 0
	.set _ZN9rocsparseL22gebsrmvn_mxn_16_kernelILj44ELj11ELj2EdEEvi20rocsparse_direction_NS_24const_host_device_scalarIT2_EEPKiS6_PKS3_iiS8_S4_PS3_21rocsparse_index_base_b.private_seg_size, 0
	.set _ZN9rocsparseL22gebsrmvn_mxn_16_kernelILj44ELj11ELj2EdEEvi20rocsparse_direction_NS_24const_host_device_scalarIT2_EEPKiS6_PKS3_iiS8_S4_PS3_21rocsparse_index_base_b.uses_vcc, 1
	.set _ZN9rocsparseL22gebsrmvn_mxn_16_kernelILj44ELj11ELj2EdEEvi20rocsparse_direction_NS_24const_host_device_scalarIT2_EEPKiS6_PKS3_iiS8_S4_PS3_21rocsparse_index_base_b.uses_flat_scratch, 0
	.set _ZN9rocsparseL22gebsrmvn_mxn_16_kernelILj44ELj11ELj2EdEEvi20rocsparse_direction_NS_24const_host_device_scalarIT2_EEPKiS6_PKS3_iiS8_S4_PS3_21rocsparse_index_base_b.has_dyn_sized_stack, 0
	.set _ZN9rocsparseL22gebsrmvn_mxn_16_kernelILj44ELj11ELj2EdEEvi20rocsparse_direction_NS_24const_host_device_scalarIT2_EEPKiS6_PKS3_iiS8_S4_PS3_21rocsparse_index_base_b.has_recursion, 0
	.set _ZN9rocsparseL22gebsrmvn_mxn_16_kernelILj44ELj11ELj2EdEEvi20rocsparse_direction_NS_24const_host_device_scalarIT2_EEPKiS6_PKS3_iiS8_S4_PS3_21rocsparse_index_base_b.has_indirect_call, 0
	.section	.AMDGPU.csdata,"",@progbits
; Kernel info:
; codeLenInByte = 880
; TotalNumSgprs: 22
; NumVgprs: 17
; ScratchSize: 0
; MemoryBound: 0
; FloatMode: 240
; IeeeMode: 1
; LDSByteSize: 352 bytes/workgroup (compile time only)
; SGPRBlocks: 2
; VGPRBlocks: 4
; NumSGPRsForWavesPerEU: 22
; NumVGPRsForWavesPerEU: 17
; Occupancy: 10
; WaveLimiterHint : 1
; COMPUTE_PGM_RSRC2:SCRATCH_EN: 0
; COMPUTE_PGM_RSRC2:USER_SGPR: 6
; COMPUTE_PGM_RSRC2:TRAP_HANDLER: 0
; COMPUTE_PGM_RSRC2:TGID_X_EN: 1
; COMPUTE_PGM_RSRC2:TGID_Y_EN: 0
; COMPUTE_PGM_RSRC2:TGID_Z_EN: 0
; COMPUTE_PGM_RSRC2:TIDIG_COMP_CNT: 0
	.section	.text._ZN9rocsparseL22gebsrmvn_mxn_16_kernelILj33ELj11ELj3EdEEvi20rocsparse_direction_NS_24const_host_device_scalarIT2_EEPKiS6_PKS3_iiS8_S4_PS3_21rocsparse_index_base_b,"axG",@progbits,_ZN9rocsparseL22gebsrmvn_mxn_16_kernelILj33ELj11ELj3EdEEvi20rocsparse_direction_NS_24const_host_device_scalarIT2_EEPKiS6_PKS3_iiS8_S4_PS3_21rocsparse_index_base_b,comdat
	.globl	_ZN9rocsparseL22gebsrmvn_mxn_16_kernelILj33ELj11ELj3EdEEvi20rocsparse_direction_NS_24const_host_device_scalarIT2_EEPKiS6_PKS3_iiS8_S4_PS3_21rocsparse_index_base_b ; -- Begin function _ZN9rocsparseL22gebsrmvn_mxn_16_kernelILj33ELj11ELj3EdEEvi20rocsparse_direction_NS_24const_host_device_scalarIT2_EEPKiS6_PKS3_iiS8_S4_PS3_21rocsparse_index_base_b
	.p2align	8
	.type	_ZN9rocsparseL22gebsrmvn_mxn_16_kernelILj33ELj11ELj3EdEEvi20rocsparse_direction_NS_24const_host_device_scalarIT2_EEPKiS6_PKS3_iiS8_S4_PS3_21rocsparse_index_base_b,@function
_ZN9rocsparseL22gebsrmvn_mxn_16_kernelILj33ELj11ELj3EdEEvi20rocsparse_direction_NS_24const_host_device_scalarIT2_EEPKiS6_PKS3_iiS8_S4_PS3_21rocsparse_index_base_b: ; @_ZN9rocsparseL22gebsrmvn_mxn_16_kernelILj33ELj11ELj3EdEEvi20rocsparse_direction_NS_24const_host_device_scalarIT2_EEPKiS6_PKS3_iiS8_S4_PS3_21rocsparse_index_base_b
; %bb.0:
	s_load_dwordx2 s[10:11], s[4:5], 0x48
	s_load_dwordx2 s[8:9], s[4:5], 0x8
	;; [unrolled: 1-line block ×3, first 2 shown]
	s_waitcnt lgkmcnt(0)
	s_bitcmp1_b32 s11, 0
	s_cselect_b64 s[12:13], -1, 0
	v_mov_b32_e32 v3, s8
	s_xor_b64 s[2:3], s[12:13], -1
	s_and_b64 vcc, exec, s[12:13]
	v_mov_b32_e32 v4, s9
	s_cbranch_vccnz .LBB54_2
; %bb.1:
	v_mov_b32_e32 v1, s8
	v_mov_b32_e32 v2, s9
	flat_load_dwordx2 v[3:4], v[1:2]
.LBB54_2:
	v_mov_b32_e32 v2, s1
	s_andn2_b64 vcc, exec, s[2:3]
	v_mov_b32_e32 v1, s0
	s_cbranch_vccnz .LBB54_4
; %bb.3:
	v_mov_b32_e32 v2, s1
	v_mov_b32_e32 v1, s0
	flat_load_dwordx2 v[1:2], v[1:2]
.LBB54_4:
	s_waitcnt vmcnt(0) lgkmcnt(0)
	v_cmp_neq_f64_e32 vcc, 0, v[3:4]
	v_cmp_neq_f64_e64 s[0:1], 1.0, v[1:2]
	s_or_b64 s[0:1], vcc, s[0:1]
	s_and_saveexec_b64 s[2:3], s[0:1]
	s_cbranch_execz .LBB54_33
; %bb.5:
	s_load_dwordx2 s[0:1], s[4:5], 0x10
	s_load_dword s2, s[4:5], 0x4
	v_mul_u32_u24_e32 v6, 0x5556, v0
	v_mov_b32_e32 v5, 3
	v_mul_lo_u16_sdwa v6, v6, v5 dst_sel:DWORD dst_unused:UNUSED_PAD src0_sel:WORD_1 src1_sel:DWORD
	v_sub_u16_e32 v12, v0, v6
	s_waitcnt lgkmcnt(0)
	s_cmp_lg_u32 s2, 1
	s_cselect_b64 s[12:13], -1, 0
	s_and_b64 vcc, exec, s[12:13]
	v_mov_b32_e32 v7, v12
	s_cbranch_vccnz .LBB54_7
; %bb.6:
	s_movk_i32 s2, 0x1746
	v_mul_u32_u24_sdwa v6, v0, s2 dst_sel:DWORD dst_unused:UNUSED_PAD src0_sel:WORD_0 src1_sel:DWORD
	s_movk_i32 s2, 0x56
	v_mul_lo_u16_sdwa v7, v6, s2 dst_sel:DWORD dst_unused:UNUSED_PAD src0_sel:WORD_1 src1_sel:DWORD
	v_mul_lo_u16_sdwa v5, v7, v5 dst_sel:DWORD dst_unused:UNUSED_PAD src0_sel:BYTE_1 src1_sel:DWORD
	v_sub_u16_sdwa v5, v6, v5 dst_sel:DWORD dst_unused:UNUSED_PAD src0_sel:WORD_1 src1_sel:DWORD
	v_and_b32_e32 v7, 0xff, v5
.LBB54_7:
	s_ashr_i32 s7, s6, 31
	s_lshl_b64 s[2:3], s[6:7], 2
	s_add_u32 s0, s0, s2
	s_addc_u32 s1, s1, s3
	s_load_dwordx2 s[16:17], s[0:1], 0x0
	s_load_dwordx2 s[8:9], s[4:5], 0x40
	v_mov_b32_e32 v5, 0
	v_mov_b32_e32 v6, 0
	s_waitcnt lgkmcnt(0)
	s_cmp_ge_i32 s16, s17
	s_cbranch_scc1 .LBB54_12
; %bb.8:
	s_load_dwordx4 s[0:3], s[4:5], 0x18
	s_load_dwordx2 s[14:15], s[4:5], 0x30
	v_mad_u64_u32 v[5:6], s[4:5], s16, 33, v[0:1]
	s_movk_i32 s4, 0x7c2
	v_mul_u32_u24_sdwa v13, v0, s4 dst_sel:DWORD dst_unused:UNUSED_PAD src0_sel:WORD_0 src1_sel:DWORD
	s_mul_i32 s4, s10, 33
	v_subrev_u32_e32 v8, s4, v5
	v_mov_b32_e32 v5, 0
	s_sub_i32 s7, s17, s10
	s_sub_i32 s11, s16, s10
	v_mov_b32_e32 v6, 0
	v_mov_b32_e32 v9, 0
	s_branch .LBB54_10
.LBB54_9:                               ;   in Loop: Header=BB54_10 Depth=1
	s_or_b64 exec, exec, s[4:5]
	s_add_i32 s11, s11, 1
	s_cmp_ge_i32 s11, s7
	v_add_u32_e32 v8, 33, v8
	s_cbranch_scc1 .LBB54_12
.LBB54_10:                              ; =>This Inner Loop Header: Depth=1
	v_add_u32_sdwa v10, v13, s11 dst_sel:DWORD dst_unused:UNUSED_PAD src0_sel:WORD_1 src1_sel:DWORD
	v_cmp_gt_i32_e32 vcc, s7, v10
	s_and_saveexec_b64 s[4:5], vcc
	s_cbranch_execz .LBB54_9
; %bb.11:                               ;   in Loop: Header=BB54_10 Depth=1
	v_ashrrev_i32_e32 v11, 31, v10
	v_lshlrev_b64 v[10:11], 2, v[10:11]
	s_waitcnt lgkmcnt(0)
	v_mov_b32_e32 v14, s1
	v_add_co_u32_e32 v10, vcc, s0, v10
	v_addc_co_u32_e32 v11, vcc, v14, v11, vcc
	global_load_dword v14, v[10:11], off
	v_lshlrev_b64 v[10:11], 3, v[8:9]
	v_mov_b32_e32 v16, s3
	v_add_co_u32_e32 v10, vcc, s2, v10
	v_addc_co_u32_e32 v11, vcc, v16, v11, vcc
	v_mov_b32_e32 v17, s15
	global_load_dwordx2 v[10:11], v[10:11], off
	s_waitcnt vmcnt(1)
	v_subrev_u32_e32 v14, s10, v14
	v_mad_u64_u32 v[14:15], s[16:17], v14, 3, v[7:8]
	v_ashrrev_i32_e32 v15, 31, v14
	v_lshlrev_b64 v[14:15], 3, v[14:15]
	v_add_co_u32_e32 v14, vcc, s14, v14
	v_addc_co_u32_e32 v15, vcc, v17, v15, vcc
	global_load_dwordx2 v[14:15], v[14:15], off
	s_waitcnt vmcnt(0)
	v_fma_f64 v[5:6], v[10:11], v[14:15], v[5:6]
	s_branch .LBB54_9
.LBB54_12:
	v_lshlrev_b32_e32 v9, 3, v0
	s_and_b64 vcc, exec, s[12:13]
	ds_write_b64 v9, v[5:6]
	s_waitcnt lgkmcnt(0)
	; wave barrier
	s_cbranch_vccz .LBB54_20
; %bb.13:
	v_cmp_eq_u16_e32 vcc, 0, v12
	s_and_saveexec_b64 s[0:1], vcc
	s_cbranch_execz .LBB54_15
; %bb.14:
	ds_read2_b64 v[10:13], v9 offset1:2
	s_waitcnt lgkmcnt(0)
	v_add_f64 v[7:8], v[12:13], v[10:11]
	ds_write_b64 v9, v[7:8]
.LBB54_15:
	s_or_b64 exec, exec, s[0:1]
	s_waitcnt lgkmcnt(0)
	; wave barrier
	s_and_saveexec_b64 s[0:1], vcc
	s_cbranch_execz .LBB54_17
; %bb.16:
	ds_read2_b64 v[10:13], v9 offset1:1
	s_waitcnt lgkmcnt(0)
	v_add_f64 v[7:8], v[12:13], v[10:11]
	ds_write_b64 v9, v[7:8]
.LBB54_17:
	s_or_b64 exec, exec, s[0:1]
	v_mov_b32_e32 v8, v6
	v_cmp_gt_u32_e32 vcc, 11, v0
	v_mov_b32_e32 v7, v5
	s_waitcnt lgkmcnt(0)
	; wave barrier
	s_and_saveexec_b64 s[0:1], vcc
; %bb.18:
	v_lshl_add_u32 v7, v0, 4, v9
	ds_read_b64 v[7:8], v7
; %bb.19:
	s_or_b64 exec, exec, s[0:1]
	v_cmp_gt_u32_e64 s[0:1], 11, v0
	s_branch .LBB54_28
.LBB54_20:
                                        ; implicit-def: $vgpr7_vgpr8
	v_cmp_gt_u32_e64 s[0:1], 11, v0
	s_cbranch_execz .LBB54_28
; %bb.21:
	v_cmp_lt_u32_e32 vcc, 10, v0
	s_and_saveexec_b64 s[2:3], s[0:1]
	s_cbranch_execz .LBB54_23
; %bb.22:
	ds_read2_b64 v[10:13], v9 offset1:22
	s_waitcnt lgkmcnt(0)
	v_add_f64 v[7:8], v[12:13], v[10:11]
	ds_write_b64 v9, v[7:8]
.LBB54_23:
	s_or_b64 exec, exec, s[2:3]
	s_waitcnt lgkmcnt(0)
	; wave barrier
	s_and_saveexec_b64 s[0:1], vcc
	s_xor_b64 s[0:1], exec, s[0:1]
; %bb.24:
                                        ; implicit-def: $vgpr9
; %bb.25:
	s_andn2_saveexec_b64 s[0:1], s[0:1]
	s_cbranch_execz .LBB54_27
; %bb.26:
	ds_read2_b64 v[5:8], v9 offset1:11
	s_waitcnt lgkmcnt(0)
	v_add_f64 v[5:6], v[7:8], v[5:6]
	ds_write_b64 v9, v[5:6]
	s_waitcnt lgkmcnt(0)
	ds_read_b64 v[5:6], v9
.LBB54_27:
	s_or_b64 exec, exec, s[0:1]
	s_waitcnt lgkmcnt(0)
	v_mov_b32_e32 v8, v6
	v_mov_b32_e32 v7, v5
.LBB54_28:
	v_cmp_gt_u32_e32 vcc, 11, v0
	s_and_b64 exec, exec, vcc
	s_cbranch_execz .LBB54_33
; %bb.29:
	v_cmp_eq_f64_e32 vcc, 0, v[1:2]
	s_waitcnt lgkmcnt(0)
	v_mul_f64 v[3:4], v[3:4], v[7:8]
	s_and_saveexec_b64 s[0:1], vcc
	s_xor_b64 s[0:1], exec, s[0:1]
	s_cbranch_execz .LBB54_31
; %bb.30:
	v_mad_u64_u32 v[0:1], s[2:3], s6, 11, v[0:1]
	v_mov_b32_e32 v1, 0
	v_mov_b32_e32 v2, s9
	v_lshlrev_b64 v[0:1], 3, v[0:1]
	v_add_co_u32_e32 v0, vcc, s8, v0
	v_addc_co_u32_e32 v1, vcc, v2, v1, vcc
	global_store_dwordx2 v[0:1], v[3:4], off
                                        ; implicit-def: $vgpr0
                                        ; implicit-def: $vgpr1_vgpr2
                                        ; implicit-def: $vgpr3_vgpr4
.LBB54_31:
	s_andn2_saveexec_b64 s[0:1], s[0:1]
	s_cbranch_execz .LBB54_33
; %bb.32:
	v_mad_u64_u32 v[5:6], s[0:1], s6, 11, v[0:1]
	v_mov_b32_e32 v6, 0
	v_mov_b32_e32 v0, s9
	v_lshlrev_b64 v[5:6], 3, v[5:6]
	v_add_co_u32_e32 v5, vcc, s8, v5
	v_addc_co_u32_e32 v6, vcc, v0, v6, vcc
	global_load_dwordx2 v[7:8], v[5:6], off
	s_waitcnt vmcnt(0)
	v_fma_f64 v[0:1], v[1:2], v[7:8], v[3:4]
	global_store_dwordx2 v[5:6], v[0:1], off
.LBB54_33:
	s_endpgm
	.section	.rodata,"a",@progbits
	.p2align	6, 0x0
	.amdhsa_kernel _ZN9rocsparseL22gebsrmvn_mxn_16_kernelILj33ELj11ELj3EdEEvi20rocsparse_direction_NS_24const_host_device_scalarIT2_EEPKiS6_PKS3_iiS8_S4_PS3_21rocsparse_index_base_b
		.amdhsa_group_segment_fixed_size 264
		.amdhsa_private_segment_fixed_size 0
		.amdhsa_kernarg_size 80
		.amdhsa_user_sgpr_count 6
		.amdhsa_user_sgpr_private_segment_buffer 1
		.amdhsa_user_sgpr_dispatch_ptr 0
		.amdhsa_user_sgpr_queue_ptr 0
		.amdhsa_user_sgpr_kernarg_segment_ptr 1
		.amdhsa_user_sgpr_dispatch_id 0
		.amdhsa_user_sgpr_flat_scratch_init 0
		.amdhsa_user_sgpr_private_segment_size 0
		.amdhsa_uses_dynamic_stack 0
		.amdhsa_system_sgpr_private_segment_wavefront_offset 0
		.amdhsa_system_sgpr_workgroup_id_x 1
		.amdhsa_system_sgpr_workgroup_id_y 0
		.amdhsa_system_sgpr_workgroup_id_z 0
		.amdhsa_system_sgpr_workgroup_info 0
		.amdhsa_system_vgpr_workitem_id 0
		.amdhsa_next_free_vgpr 18
		.amdhsa_next_free_sgpr 18
		.amdhsa_reserve_vcc 1
		.amdhsa_reserve_flat_scratch 0
		.amdhsa_float_round_mode_32 0
		.amdhsa_float_round_mode_16_64 0
		.amdhsa_float_denorm_mode_32 3
		.amdhsa_float_denorm_mode_16_64 3
		.amdhsa_dx10_clamp 1
		.amdhsa_ieee_mode 1
		.amdhsa_fp16_overflow 0
		.amdhsa_exception_fp_ieee_invalid_op 0
		.amdhsa_exception_fp_denorm_src 0
		.amdhsa_exception_fp_ieee_div_zero 0
		.amdhsa_exception_fp_ieee_overflow 0
		.amdhsa_exception_fp_ieee_underflow 0
		.amdhsa_exception_fp_ieee_inexact 0
		.amdhsa_exception_int_div_zero 0
	.end_amdhsa_kernel
	.section	.text._ZN9rocsparseL22gebsrmvn_mxn_16_kernelILj33ELj11ELj3EdEEvi20rocsparse_direction_NS_24const_host_device_scalarIT2_EEPKiS6_PKS3_iiS8_S4_PS3_21rocsparse_index_base_b,"axG",@progbits,_ZN9rocsparseL22gebsrmvn_mxn_16_kernelILj33ELj11ELj3EdEEvi20rocsparse_direction_NS_24const_host_device_scalarIT2_EEPKiS6_PKS3_iiS8_S4_PS3_21rocsparse_index_base_b,comdat
.Lfunc_end54:
	.size	_ZN9rocsparseL22gebsrmvn_mxn_16_kernelILj33ELj11ELj3EdEEvi20rocsparse_direction_NS_24const_host_device_scalarIT2_EEPKiS6_PKS3_iiS8_S4_PS3_21rocsparse_index_base_b, .Lfunc_end54-_ZN9rocsparseL22gebsrmvn_mxn_16_kernelILj33ELj11ELj3EdEEvi20rocsparse_direction_NS_24const_host_device_scalarIT2_EEPKiS6_PKS3_iiS8_S4_PS3_21rocsparse_index_base_b
                                        ; -- End function
	.set _ZN9rocsparseL22gebsrmvn_mxn_16_kernelILj33ELj11ELj3EdEEvi20rocsparse_direction_NS_24const_host_device_scalarIT2_EEPKiS6_PKS3_iiS8_S4_PS3_21rocsparse_index_base_b.num_vgpr, 18
	.set _ZN9rocsparseL22gebsrmvn_mxn_16_kernelILj33ELj11ELj3EdEEvi20rocsparse_direction_NS_24const_host_device_scalarIT2_EEPKiS6_PKS3_iiS8_S4_PS3_21rocsparse_index_base_b.num_agpr, 0
	.set _ZN9rocsparseL22gebsrmvn_mxn_16_kernelILj33ELj11ELj3EdEEvi20rocsparse_direction_NS_24const_host_device_scalarIT2_EEPKiS6_PKS3_iiS8_S4_PS3_21rocsparse_index_base_b.numbered_sgpr, 18
	.set _ZN9rocsparseL22gebsrmvn_mxn_16_kernelILj33ELj11ELj3EdEEvi20rocsparse_direction_NS_24const_host_device_scalarIT2_EEPKiS6_PKS3_iiS8_S4_PS3_21rocsparse_index_base_b.num_named_barrier, 0
	.set _ZN9rocsparseL22gebsrmvn_mxn_16_kernelILj33ELj11ELj3EdEEvi20rocsparse_direction_NS_24const_host_device_scalarIT2_EEPKiS6_PKS3_iiS8_S4_PS3_21rocsparse_index_base_b.private_seg_size, 0
	.set _ZN9rocsparseL22gebsrmvn_mxn_16_kernelILj33ELj11ELj3EdEEvi20rocsparse_direction_NS_24const_host_device_scalarIT2_EEPKiS6_PKS3_iiS8_S4_PS3_21rocsparse_index_base_b.uses_vcc, 1
	.set _ZN9rocsparseL22gebsrmvn_mxn_16_kernelILj33ELj11ELj3EdEEvi20rocsparse_direction_NS_24const_host_device_scalarIT2_EEPKiS6_PKS3_iiS8_S4_PS3_21rocsparse_index_base_b.uses_flat_scratch, 0
	.set _ZN9rocsparseL22gebsrmvn_mxn_16_kernelILj33ELj11ELj3EdEEvi20rocsparse_direction_NS_24const_host_device_scalarIT2_EEPKiS6_PKS3_iiS8_S4_PS3_21rocsparse_index_base_b.has_dyn_sized_stack, 0
	.set _ZN9rocsparseL22gebsrmvn_mxn_16_kernelILj33ELj11ELj3EdEEvi20rocsparse_direction_NS_24const_host_device_scalarIT2_EEPKiS6_PKS3_iiS8_S4_PS3_21rocsparse_index_base_b.has_recursion, 0
	.set _ZN9rocsparseL22gebsrmvn_mxn_16_kernelILj33ELj11ELj3EdEEvi20rocsparse_direction_NS_24const_host_device_scalarIT2_EEPKiS6_PKS3_iiS8_S4_PS3_21rocsparse_index_base_b.has_indirect_call, 0
	.section	.AMDGPU.csdata,"",@progbits
; Kernel info:
; codeLenInByte = 980
; TotalNumSgprs: 22
; NumVgprs: 18
; ScratchSize: 0
; MemoryBound: 0
; FloatMode: 240
; IeeeMode: 1
; LDSByteSize: 264 bytes/workgroup (compile time only)
; SGPRBlocks: 2
; VGPRBlocks: 4
; NumSGPRsForWavesPerEU: 22
; NumVGPRsForWavesPerEU: 18
; Occupancy: 10
; WaveLimiterHint : 1
; COMPUTE_PGM_RSRC2:SCRATCH_EN: 0
; COMPUTE_PGM_RSRC2:USER_SGPR: 6
; COMPUTE_PGM_RSRC2:TRAP_HANDLER: 0
; COMPUTE_PGM_RSRC2:TGID_X_EN: 1
; COMPUTE_PGM_RSRC2:TGID_Y_EN: 0
; COMPUTE_PGM_RSRC2:TGID_Z_EN: 0
; COMPUTE_PGM_RSRC2:TIDIG_COMP_CNT: 0
	.section	.text._ZN9rocsparseL22gebsrmvn_mxn_16_kernelILj44ELj11ELj4EdEEvi20rocsparse_direction_NS_24const_host_device_scalarIT2_EEPKiS6_PKS3_iiS8_S4_PS3_21rocsparse_index_base_b,"axG",@progbits,_ZN9rocsparseL22gebsrmvn_mxn_16_kernelILj44ELj11ELj4EdEEvi20rocsparse_direction_NS_24const_host_device_scalarIT2_EEPKiS6_PKS3_iiS8_S4_PS3_21rocsparse_index_base_b,comdat
	.globl	_ZN9rocsparseL22gebsrmvn_mxn_16_kernelILj44ELj11ELj4EdEEvi20rocsparse_direction_NS_24const_host_device_scalarIT2_EEPKiS6_PKS3_iiS8_S4_PS3_21rocsparse_index_base_b ; -- Begin function _ZN9rocsparseL22gebsrmvn_mxn_16_kernelILj44ELj11ELj4EdEEvi20rocsparse_direction_NS_24const_host_device_scalarIT2_EEPKiS6_PKS3_iiS8_S4_PS3_21rocsparse_index_base_b
	.p2align	8
	.type	_ZN9rocsparseL22gebsrmvn_mxn_16_kernelILj44ELj11ELj4EdEEvi20rocsparse_direction_NS_24const_host_device_scalarIT2_EEPKiS6_PKS3_iiS8_S4_PS3_21rocsparse_index_base_b,@function
_ZN9rocsparseL22gebsrmvn_mxn_16_kernelILj44ELj11ELj4EdEEvi20rocsparse_direction_NS_24const_host_device_scalarIT2_EEPKiS6_PKS3_iiS8_S4_PS3_21rocsparse_index_base_b: ; @_ZN9rocsparseL22gebsrmvn_mxn_16_kernelILj44ELj11ELj4EdEEvi20rocsparse_direction_NS_24const_host_device_scalarIT2_EEPKiS6_PKS3_iiS8_S4_PS3_21rocsparse_index_base_b
; %bb.0:
	s_load_dwordx2 s[10:11], s[4:5], 0x48
	s_load_dwordx2 s[8:9], s[4:5], 0x8
	;; [unrolled: 1-line block ×3, first 2 shown]
	s_waitcnt lgkmcnt(0)
	s_bitcmp1_b32 s11, 0
	s_cselect_b64 s[12:13], -1, 0
	v_mov_b32_e32 v3, s8
	s_xor_b64 s[2:3], s[12:13], -1
	s_and_b64 vcc, exec, s[12:13]
	v_mov_b32_e32 v4, s9
	s_cbranch_vccnz .LBB55_2
; %bb.1:
	v_mov_b32_e32 v1, s8
	v_mov_b32_e32 v2, s9
	flat_load_dwordx2 v[3:4], v[1:2]
.LBB55_2:
	v_mov_b32_e32 v2, s1
	s_andn2_b64 vcc, exec, s[2:3]
	v_mov_b32_e32 v1, s0
	s_cbranch_vccnz .LBB55_4
; %bb.3:
	v_mov_b32_e32 v2, s1
	v_mov_b32_e32 v1, s0
	flat_load_dwordx2 v[1:2], v[1:2]
.LBB55_4:
	s_waitcnt vmcnt(0) lgkmcnt(0)
	v_cmp_neq_f64_e32 vcc, 0, v[3:4]
	v_cmp_neq_f64_e64 s[0:1], 1.0, v[1:2]
	s_or_b64 s[0:1], vcc, s[0:1]
	s_and_saveexec_b64 s[2:3], s[0:1]
	s_cbranch_execz .LBB55_33
; %bb.5:
	s_load_dword s2, s[4:5], 0x4
	s_load_dwordx2 s[0:1], s[4:5], 0x10
	v_and_b32_e32 v11, 3, v0
	v_mov_b32_e32 v12, v11
	s_waitcnt lgkmcnt(0)
	s_cmp_lg_u32 s2, 1
	s_cselect_b64 s[12:13], -1, 0
	s_and_b64 vcc, exec, s[12:13]
	s_cbranch_vccnz .LBB55_7
; %bb.6:
	v_mul_u32_u24_e32 v5, 0x1746, v0
	v_bfe_u32 v12, v5, 16, 2
.LBB55_7:
	s_ashr_i32 s7, s6, 31
	s_lshl_b64 s[2:3], s[6:7], 2
	s_add_u32 s0, s0, s2
	s_addc_u32 s1, s1, s3
	s_load_dwordx2 s[16:17], s[0:1], 0x0
	s_load_dwordx2 s[8:9], s[4:5], 0x40
	v_mov_b32_e32 v5, 0
	v_mov_b32_e32 v6, 0
	s_waitcnt lgkmcnt(0)
	s_cmp_ge_i32 s16, s17
	s_cbranch_scc1 .LBB55_12
; %bb.8:
	s_load_dwordx4 s[0:3], s[4:5], 0x18
	s_load_dwordx2 s[14:15], s[4:5], 0x30
	v_mad_u64_u32 v[5:6], s[4:5], s16, 44, v[0:1]
	s_mul_i32 s4, s10, 44
	s_sub_i32 s7, s17, s10
	v_subrev_u32_e32 v7, s4, v5
	v_mov_b32_e32 v5, 0
	s_sub_i32 s11, s16, s10
	v_mul_u32_u24_e32 v13, 0x5d2, v0
	v_mov_b32_e32 v6, 0
	v_mov_b32_e32 v8, 0
	s_branch .LBB55_10
.LBB55_9:                               ;   in Loop: Header=BB55_10 Depth=1
	s_or_b64 exec, exec, s[4:5]
	s_add_i32 s11, s11, 1
	s_cmp_ge_i32 s11, s7
	v_add_u32_e32 v7, 44, v7
	s_cbranch_scc1 .LBB55_12
.LBB55_10:                              ; =>This Inner Loop Header: Depth=1
	v_add_u32_sdwa v9, v13, s11 dst_sel:DWORD dst_unused:UNUSED_PAD src0_sel:WORD_1 src1_sel:DWORD
	v_cmp_gt_i32_e32 vcc, s7, v9
	s_and_saveexec_b64 s[4:5], vcc
	s_cbranch_execz .LBB55_9
; %bb.11:                               ;   in Loop: Header=BB55_10 Depth=1
	v_ashrrev_i32_e32 v10, 31, v9
	v_lshlrev_b64 v[9:10], 2, v[9:10]
	s_waitcnt lgkmcnt(0)
	v_mov_b32_e32 v14, s1
	v_add_co_u32_e32 v9, vcc, s0, v9
	v_addc_co_u32_e32 v10, vcc, v14, v10, vcc
	global_load_dword v14, v[9:10], off
	v_lshlrev_b64 v[9:10], 3, v[7:8]
	v_mov_b32_e32 v15, s3
	v_add_co_u32_e32 v9, vcc, s2, v9
	v_addc_co_u32_e32 v10, vcc, v15, v10, vcc
	v_mov_b32_e32 v16, s15
	global_load_dwordx2 v[9:10], v[9:10], off
	s_waitcnt vmcnt(1)
	v_subrev_u32_e32 v14, s10, v14
	v_lshl_or_b32 v14, v14, 2, v12
	v_ashrrev_i32_e32 v15, 31, v14
	v_lshlrev_b64 v[14:15], 3, v[14:15]
	v_add_co_u32_e32 v14, vcc, s14, v14
	v_addc_co_u32_e32 v15, vcc, v16, v15, vcc
	global_load_dwordx2 v[14:15], v[14:15], off
	s_waitcnt vmcnt(0)
	v_fma_f64 v[5:6], v[9:10], v[14:15], v[5:6]
	s_branch .LBB55_9
.LBB55_12:
	v_lshlrev_b32_e32 v9, 3, v0
	s_and_b64 vcc, exec, s[12:13]
	ds_write_b64 v9, v[5:6]
	s_waitcnt lgkmcnt(0)
	; wave barrier
	s_cbranch_vccz .LBB55_20
; %bb.13:
	v_cmp_gt_u32_e32 vcc, 2, v11
	s_and_saveexec_b64 s[0:1], vcc
	s_cbranch_execz .LBB55_15
; %bb.14:
	ds_read2_b64 v[12:15], v9 offset1:2
	s_waitcnt lgkmcnt(0)
	v_add_f64 v[7:8], v[14:15], v[12:13]
	ds_write_b64 v9, v[7:8]
.LBB55_15:
	s_or_b64 exec, exec, s[0:1]
	v_cmp_eq_u32_e32 vcc, 0, v11
	s_waitcnt lgkmcnt(0)
	; wave barrier
	s_and_saveexec_b64 s[0:1], vcc
	s_cbranch_execz .LBB55_17
; %bb.16:
	ds_read2_b64 v[10:13], v9 offset1:1
	s_waitcnt lgkmcnt(0)
	v_add_f64 v[7:8], v[12:13], v[10:11]
	ds_write_b64 v9, v[7:8]
.LBB55_17:
	s_or_b64 exec, exec, s[0:1]
	v_mov_b32_e32 v8, v6
	v_cmp_gt_u32_e32 vcc, 11, v0
	v_mov_b32_e32 v7, v5
	s_waitcnt lgkmcnt(0)
	; wave barrier
	s_and_saveexec_b64 s[0:1], vcc
; %bb.18:
	v_mad_u32_u24 v7, v0, 24, v9
	ds_read_b64 v[7:8], v7
; %bb.19:
	s_or_b64 exec, exec, s[0:1]
	s_branch .LBB55_28
.LBB55_20:
                                        ; implicit-def: $vgpr7_vgpr8
	s_cbranch_execz .LBB55_28
; %bb.21:
	v_cmp_gt_u32_e32 vcc, 22, v0
	s_and_saveexec_b64 s[0:1], vcc
	s_cbranch_execz .LBB55_23
; %bb.22:
	ds_read2_b64 v[10:13], v9 offset1:22
	s_waitcnt lgkmcnt(0)
	v_add_f64 v[7:8], v[12:13], v[10:11]
	ds_write_b64 v9, v[7:8]
.LBB55_23:
	s_or_b64 exec, exec, s[0:1]
	v_cmp_lt_u32_e32 vcc, 10, v0
	s_waitcnt lgkmcnt(0)
	s_and_saveexec_b64 s[0:1], vcc
	s_xor_b64 s[0:1], exec, s[0:1]
; %bb.24:
                                        ; implicit-def: $vgpr9
; %bb.25:
	s_andn2_saveexec_b64 s[0:1], s[0:1]
	s_cbranch_execz .LBB55_27
; %bb.26:
	ds_read2_b64 v[5:8], v9 offset1:11
	s_waitcnt lgkmcnt(0)
	v_add_f64 v[5:6], v[7:8], v[5:6]
	ds_write_b64 v9, v[5:6]
	s_waitcnt lgkmcnt(0)
	ds_read_b64 v[5:6], v9
.LBB55_27:
	s_or_b64 exec, exec, s[0:1]
	s_waitcnt lgkmcnt(0)
	v_mov_b32_e32 v8, v6
	v_mov_b32_e32 v7, v5
.LBB55_28:
	v_cmp_gt_u32_e32 vcc, 11, v0
	s_and_b64 exec, exec, vcc
	s_cbranch_execz .LBB55_33
; %bb.29:
	v_cmp_eq_f64_e32 vcc, 0, v[1:2]
	s_waitcnt lgkmcnt(0)
	v_mul_f64 v[3:4], v[3:4], v[7:8]
	s_and_saveexec_b64 s[0:1], vcc
	s_xor_b64 s[0:1], exec, s[0:1]
	s_cbranch_execz .LBB55_31
; %bb.30:
	v_mad_u64_u32 v[0:1], s[2:3], s6, 11, v[0:1]
	v_mov_b32_e32 v1, 0
	v_mov_b32_e32 v2, s9
	v_lshlrev_b64 v[0:1], 3, v[0:1]
	v_add_co_u32_e32 v0, vcc, s8, v0
	v_addc_co_u32_e32 v1, vcc, v2, v1, vcc
	global_store_dwordx2 v[0:1], v[3:4], off
                                        ; implicit-def: $vgpr0
                                        ; implicit-def: $vgpr1_vgpr2
                                        ; implicit-def: $vgpr3_vgpr4
.LBB55_31:
	s_andn2_saveexec_b64 s[0:1], s[0:1]
	s_cbranch_execz .LBB55_33
; %bb.32:
	v_mad_u64_u32 v[5:6], s[0:1], s6, 11, v[0:1]
	v_mov_b32_e32 v6, 0
	v_mov_b32_e32 v0, s9
	v_lshlrev_b64 v[5:6], 3, v[5:6]
	v_add_co_u32_e32 v5, vcc, s8, v5
	v_addc_co_u32_e32 v6, vcc, v0, v6, vcc
	global_load_dwordx2 v[7:8], v[5:6], off
	s_waitcnt vmcnt(0)
	v_fma_f64 v[0:1], v[1:2], v[7:8], v[3:4]
	global_store_dwordx2 v[5:6], v[0:1], off
.LBB55_33:
	s_endpgm
	.section	.rodata,"a",@progbits
	.p2align	6, 0x0
	.amdhsa_kernel _ZN9rocsparseL22gebsrmvn_mxn_16_kernelILj44ELj11ELj4EdEEvi20rocsparse_direction_NS_24const_host_device_scalarIT2_EEPKiS6_PKS3_iiS8_S4_PS3_21rocsparse_index_base_b
		.amdhsa_group_segment_fixed_size 352
		.amdhsa_private_segment_fixed_size 0
		.amdhsa_kernarg_size 80
		.amdhsa_user_sgpr_count 6
		.amdhsa_user_sgpr_private_segment_buffer 1
		.amdhsa_user_sgpr_dispatch_ptr 0
		.amdhsa_user_sgpr_queue_ptr 0
		.amdhsa_user_sgpr_kernarg_segment_ptr 1
		.amdhsa_user_sgpr_dispatch_id 0
		.amdhsa_user_sgpr_flat_scratch_init 0
		.amdhsa_user_sgpr_private_segment_size 0
		.amdhsa_uses_dynamic_stack 0
		.amdhsa_system_sgpr_private_segment_wavefront_offset 0
		.amdhsa_system_sgpr_workgroup_id_x 1
		.amdhsa_system_sgpr_workgroup_id_y 0
		.amdhsa_system_sgpr_workgroup_id_z 0
		.amdhsa_system_sgpr_workgroup_info 0
		.amdhsa_system_vgpr_workitem_id 0
		.amdhsa_next_free_vgpr 17
		.amdhsa_next_free_sgpr 18
		.amdhsa_reserve_vcc 1
		.amdhsa_reserve_flat_scratch 0
		.amdhsa_float_round_mode_32 0
		.amdhsa_float_round_mode_16_64 0
		.amdhsa_float_denorm_mode_32 3
		.amdhsa_float_denorm_mode_16_64 3
		.amdhsa_dx10_clamp 1
		.amdhsa_ieee_mode 1
		.amdhsa_fp16_overflow 0
		.amdhsa_exception_fp_ieee_invalid_op 0
		.amdhsa_exception_fp_denorm_src 0
		.amdhsa_exception_fp_ieee_div_zero 0
		.amdhsa_exception_fp_ieee_overflow 0
		.amdhsa_exception_fp_ieee_underflow 0
		.amdhsa_exception_fp_ieee_inexact 0
		.amdhsa_exception_int_div_zero 0
	.end_amdhsa_kernel
	.section	.text._ZN9rocsparseL22gebsrmvn_mxn_16_kernelILj44ELj11ELj4EdEEvi20rocsparse_direction_NS_24const_host_device_scalarIT2_EEPKiS6_PKS3_iiS8_S4_PS3_21rocsparse_index_base_b,"axG",@progbits,_ZN9rocsparseL22gebsrmvn_mxn_16_kernelILj44ELj11ELj4EdEEvi20rocsparse_direction_NS_24const_host_device_scalarIT2_EEPKiS6_PKS3_iiS8_S4_PS3_21rocsparse_index_base_b,comdat
.Lfunc_end55:
	.size	_ZN9rocsparseL22gebsrmvn_mxn_16_kernelILj44ELj11ELj4EdEEvi20rocsparse_direction_NS_24const_host_device_scalarIT2_EEPKiS6_PKS3_iiS8_S4_PS3_21rocsparse_index_base_b, .Lfunc_end55-_ZN9rocsparseL22gebsrmvn_mxn_16_kernelILj44ELj11ELj4EdEEvi20rocsparse_direction_NS_24const_host_device_scalarIT2_EEPKiS6_PKS3_iiS8_S4_PS3_21rocsparse_index_base_b
                                        ; -- End function
	.set _ZN9rocsparseL22gebsrmvn_mxn_16_kernelILj44ELj11ELj4EdEEvi20rocsparse_direction_NS_24const_host_device_scalarIT2_EEPKiS6_PKS3_iiS8_S4_PS3_21rocsparse_index_base_b.num_vgpr, 17
	.set _ZN9rocsparseL22gebsrmvn_mxn_16_kernelILj44ELj11ELj4EdEEvi20rocsparse_direction_NS_24const_host_device_scalarIT2_EEPKiS6_PKS3_iiS8_S4_PS3_21rocsparse_index_base_b.num_agpr, 0
	.set _ZN9rocsparseL22gebsrmvn_mxn_16_kernelILj44ELj11ELj4EdEEvi20rocsparse_direction_NS_24const_host_device_scalarIT2_EEPKiS6_PKS3_iiS8_S4_PS3_21rocsparse_index_base_b.numbered_sgpr, 18
	.set _ZN9rocsparseL22gebsrmvn_mxn_16_kernelILj44ELj11ELj4EdEEvi20rocsparse_direction_NS_24const_host_device_scalarIT2_EEPKiS6_PKS3_iiS8_S4_PS3_21rocsparse_index_base_b.num_named_barrier, 0
	.set _ZN9rocsparseL22gebsrmvn_mxn_16_kernelILj44ELj11ELj4EdEEvi20rocsparse_direction_NS_24const_host_device_scalarIT2_EEPKiS6_PKS3_iiS8_S4_PS3_21rocsparse_index_base_b.private_seg_size, 0
	.set _ZN9rocsparseL22gebsrmvn_mxn_16_kernelILj44ELj11ELj4EdEEvi20rocsparse_direction_NS_24const_host_device_scalarIT2_EEPKiS6_PKS3_iiS8_S4_PS3_21rocsparse_index_base_b.uses_vcc, 1
	.set _ZN9rocsparseL22gebsrmvn_mxn_16_kernelILj44ELj11ELj4EdEEvi20rocsparse_direction_NS_24const_host_device_scalarIT2_EEPKiS6_PKS3_iiS8_S4_PS3_21rocsparse_index_base_b.uses_flat_scratch, 0
	.set _ZN9rocsparseL22gebsrmvn_mxn_16_kernelILj44ELj11ELj4EdEEvi20rocsparse_direction_NS_24const_host_device_scalarIT2_EEPKiS6_PKS3_iiS8_S4_PS3_21rocsparse_index_base_b.has_dyn_sized_stack, 0
	.set _ZN9rocsparseL22gebsrmvn_mxn_16_kernelILj44ELj11ELj4EdEEvi20rocsparse_direction_NS_24const_host_device_scalarIT2_EEPKiS6_PKS3_iiS8_S4_PS3_21rocsparse_index_base_b.has_recursion, 0
	.set _ZN9rocsparseL22gebsrmvn_mxn_16_kernelILj44ELj11ELj4EdEEvi20rocsparse_direction_NS_24const_host_device_scalarIT2_EEPKiS6_PKS3_iiS8_S4_PS3_21rocsparse_index_base_b.has_indirect_call, 0
	.section	.AMDGPU.csdata,"",@progbits
; Kernel info:
; codeLenInByte = 916
; TotalNumSgprs: 22
; NumVgprs: 17
; ScratchSize: 0
; MemoryBound: 0
; FloatMode: 240
; IeeeMode: 1
; LDSByteSize: 352 bytes/workgroup (compile time only)
; SGPRBlocks: 2
; VGPRBlocks: 4
; NumSGPRsForWavesPerEU: 22
; NumVGPRsForWavesPerEU: 17
; Occupancy: 10
; WaveLimiterHint : 1
; COMPUTE_PGM_RSRC2:SCRATCH_EN: 0
; COMPUTE_PGM_RSRC2:USER_SGPR: 6
; COMPUTE_PGM_RSRC2:TRAP_HANDLER: 0
; COMPUTE_PGM_RSRC2:TGID_X_EN: 1
; COMPUTE_PGM_RSRC2:TGID_Y_EN: 0
; COMPUTE_PGM_RSRC2:TGID_Z_EN: 0
; COMPUTE_PGM_RSRC2:TIDIG_COMP_CNT: 0
	.section	.text._ZN9rocsparseL22gebsrmvn_mxn_16_kernelILj55ELj11ELj5EdEEvi20rocsparse_direction_NS_24const_host_device_scalarIT2_EEPKiS6_PKS3_iiS8_S4_PS3_21rocsparse_index_base_b,"axG",@progbits,_ZN9rocsparseL22gebsrmvn_mxn_16_kernelILj55ELj11ELj5EdEEvi20rocsparse_direction_NS_24const_host_device_scalarIT2_EEPKiS6_PKS3_iiS8_S4_PS3_21rocsparse_index_base_b,comdat
	.globl	_ZN9rocsparseL22gebsrmvn_mxn_16_kernelILj55ELj11ELj5EdEEvi20rocsparse_direction_NS_24const_host_device_scalarIT2_EEPKiS6_PKS3_iiS8_S4_PS3_21rocsparse_index_base_b ; -- Begin function _ZN9rocsparseL22gebsrmvn_mxn_16_kernelILj55ELj11ELj5EdEEvi20rocsparse_direction_NS_24const_host_device_scalarIT2_EEPKiS6_PKS3_iiS8_S4_PS3_21rocsparse_index_base_b
	.p2align	8
	.type	_ZN9rocsparseL22gebsrmvn_mxn_16_kernelILj55ELj11ELj5EdEEvi20rocsparse_direction_NS_24const_host_device_scalarIT2_EEPKiS6_PKS3_iiS8_S4_PS3_21rocsparse_index_base_b,@function
_ZN9rocsparseL22gebsrmvn_mxn_16_kernelILj55ELj11ELj5EdEEvi20rocsparse_direction_NS_24const_host_device_scalarIT2_EEPKiS6_PKS3_iiS8_S4_PS3_21rocsparse_index_base_b: ; @_ZN9rocsparseL22gebsrmvn_mxn_16_kernelILj55ELj11ELj5EdEEvi20rocsparse_direction_NS_24const_host_device_scalarIT2_EEPKiS6_PKS3_iiS8_S4_PS3_21rocsparse_index_base_b
; %bb.0:
	s_load_dwordx2 s[10:11], s[4:5], 0x48
	s_load_dwordx2 s[8:9], s[4:5], 0x8
	;; [unrolled: 1-line block ×3, first 2 shown]
	s_waitcnt lgkmcnt(0)
	s_bitcmp1_b32 s11, 0
	s_cselect_b64 s[12:13], -1, 0
	v_mov_b32_e32 v3, s8
	s_xor_b64 s[2:3], s[12:13], -1
	s_and_b64 vcc, exec, s[12:13]
	v_mov_b32_e32 v4, s9
	s_cbranch_vccnz .LBB56_2
; %bb.1:
	v_mov_b32_e32 v1, s8
	v_mov_b32_e32 v2, s9
	flat_load_dwordx2 v[3:4], v[1:2]
.LBB56_2:
	v_mov_b32_e32 v2, s1
	s_andn2_b64 vcc, exec, s[2:3]
	v_mov_b32_e32 v1, s0
	s_cbranch_vccnz .LBB56_4
; %bb.3:
	v_mov_b32_e32 v2, s1
	v_mov_b32_e32 v1, s0
	flat_load_dwordx2 v[1:2], v[1:2]
.LBB56_4:
	s_waitcnt vmcnt(0) lgkmcnt(0)
	v_cmp_neq_f64_e32 vcc, 0, v[3:4]
	v_cmp_neq_f64_e64 s[0:1], 1.0, v[1:2]
	s_or_b64 s[0:1], vcc, s[0:1]
	s_and_saveexec_b64 s[2:3], s[0:1]
	s_cbranch_execz .LBB56_37
; %bb.5:
	s_load_dwordx2 s[0:1], s[4:5], 0x10
	s_load_dword s2, s[4:5], 0x4
	v_mul_u32_u24_e32 v6, 0x3334, v0
	v_mov_b32_e32 v5, 5
	v_mul_lo_u16_sdwa v6, v6, v5 dst_sel:DWORD dst_unused:UNUSED_PAD src0_sel:WORD_1 src1_sel:DWORD
	v_sub_u16_e32 v12, v0, v6
	s_waitcnt lgkmcnt(0)
	s_cmp_lg_u32 s2, 1
	s_cselect_b64 s[12:13], -1, 0
	s_and_b64 vcc, exec, s[12:13]
	v_mov_b32_e32 v7, v12
	s_cbranch_vccnz .LBB56_7
; %bb.6:
	s_movk_i32 s2, 0x1746
	v_mul_u32_u24_sdwa v6, v0, s2 dst_sel:DWORD dst_unused:UNUSED_PAD src0_sel:WORD_0 src1_sel:DWORD
	v_mov_b32_e32 v7, 52
	v_mul_lo_u16_sdwa v7, v6, v7 dst_sel:DWORD dst_unused:UNUSED_PAD src0_sel:WORD_1 src1_sel:DWORD
	v_mul_lo_u16_sdwa v5, v7, v5 dst_sel:DWORD dst_unused:UNUSED_PAD src0_sel:BYTE_1 src1_sel:DWORD
	v_sub_u16_sdwa v5, v6, v5 dst_sel:DWORD dst_unused:UNUSED_PAD src0_sel:WORD_1 src1_sel:DWORD
	v_and_b32_e32 v7, 0xff, v5
.LBB56_7:
	s_ashr_i32 s7, s6, 31
	s_lshl_b64 s[2:3], s[6:7], 2
	s_add_u32 s0, s0, s2
	s_addc_u32 s1, s1, s3
	s_load_dwordx2 s[16:17], s[0:1], 0x0
	s_load_dwordx2 s[8:9], s[4:5], 0x40
	v_mov_b32_e32 v5, 0
	v_mov_b32_e32 v6, 0
	s_waitcnt lgkmcnt(0)
	s_cmp_ge_i32 s16, s17
	s_cbranch_scc1 .LBB56_12
; %bb.8:
	s_load_dwordx4 s[0:3], s[4:5], 0x18
	s_load_dwordx2 s[14:15], s[4:5], 0x30
	v_mad_u64_u32 v[5:6], s[4:5], s16, 55, v[0:1]
	s_movk_i32 s4, 0x4a8
	v_mul_u32_u24_sdwa v13, v0, s4 dst_sel:DWORD dst_unused:UNUSED_PAD src0_sel:WORD_0 src1_sel:DWORD
	s_mul_i32 s4, s10, 55
	v_subrev_u32_e32 v8, s4, v5
	v_mov_b32_e32 v5, 0
	s_sub_i32 s7, s17, s10
	s_sub_i32 s11, s16, s10
	v_mov_b32_e32 v6, 0
	v_mov_b32_e32 v9, 0
	s_branch .LBB56_10
.LBB56_9:                               ;   in Loop: Header=BB56_10 Depth=1
	s_or_b64 exec, exec, s[4:5]
	s_add_i32 s11, s11, 1
	s_cmp_ge_i32 s11, s7
	v_add_u32_e32 v8, 55, v8
	s_cbranch_scc1 .LBB56_12
.LBB56_10:                              ; =>This Inner Loop Header: Depth=1
	v_add_u32_sdwa v10, v13, s11 dst_sel:DWORD dst_unused:UNUSED_PAD src0_sel:WORD_1 src1_sel:DWORD
	v_cmp_gt_i32_e32 vcc, s7, v10
	s_and_saveexec_b64 s[4:5], vcc
	s_cbranch_execz .LBB56_9
; %bb.11:                               ;   in Loop: Header=BB56_10 Depth=1
	v_ashrrev_i32_e32 v11, 31, v10
	v_lshlrev_b64 v[10:11], 2, v[10:11]
	s_waitcnt lgkmcnt(0)
	v_mov_b32_e32 v14, s1
	v_add_co_u32_e32 v10, vcc, s0, v10
	v_addc_co_u32_e32 v11, vcc, v14, v11, vcc
	global_load_dword v14, v[10:11], off
	v_lshlrev_b64 v[10:11], 3, v[8:9]
	v_mov_b32_e32 v16, s3
	v_add_co_u32_e32 v10, vcc, s2, v10
	v_addc_co_u32_e32 v11, vcc, v16, v11, vcc
	v_mov_b32_e32 v17, s15
	global_load_dwordx2 v[10:11], v[10:11], off
	s_waitcnt vmcnt(1)
	v_subrev_u32_e32 v14, s10, v14
	v_mad_u64_u32 v[14:15], s[16:17], v14, 5, v[7:8]
	v_ashrrev_i32_e32 v15, 31, v14
	v_lshlrev_b64 v[14:15], 3, v[14:15]
	v_add_co_u32_e32 v14, vcc, s14, v14
	v_addc_co_u32_e32 v15, vcc, v17, v15, vcc
	global_load_dwordx2 v[14:15], v[14:15], off
	s_waitcnt vmcnt(0)
	v_fma_f64 v[5:6], v[10:11], v[14:15], v[5:6]
	s_branch .LBB56_9
.LBB56_12:
	v_lshlrev_b32_e32 v9, 3, v0
	s_and_b64 vcc, exec, s[12:13]
	ds_write_b64 v9, v[5:6]
	s_waitcnt lgkmcnt(0)
	; wave barrier
	s_cbranch_vccz .LBB56_22
; %bb.13:
	v_cmp_eq_u16_e32 vcc, 0, v12
	s_and_saveexec_b64 s[0:1], vcc
	s_cbranch_execz .LBB56_15
; %bb.14:
	ds_read2_b64 v[13:16], v9 offset1:4
	s_waitcnt lgkmcnt(0)
	v_add_f64 v[7:8], v[15:16], v[13:14]
	ds_write_b64 v9, v[7:8]
.LBB56_15:
	s_or_b64 exec, exec, s[0:1]
	v_cmp_gt_u16_e64 s[0:1], 2, v12
	s_waitcnt lgkmcnt(0)
	; wave barrier
	s_and_saveexec_b64 s[2:3], s[0:1]
	s_cbranch_execz .LBB56_17
; %bb.16:
	ds_read2_b64 v[10:13], v9 offset1:2
	s_waitcnt lgkmcnt(0)
	v_add_f64 v[7:8], v[12:13], v[10:11]
	ds_write_b64 v9, v[7:8]
.LBB56_17:
	s_or_b64 exec, exec, s[2:3]
	s_waitcnt lgkmcnt(0)
	; wave barrier
	s_and_saveexec_b64 s[0:1], vcc
	s_cbranch_execz .LBB56_19
; %bb.18:
	ds_read2_b64 v[10:13], v9 offset1:1
	s_waitcnt lgkmcnt(0)
	v_add_f64 v[7:8], v[12:13], v[10:11]
	ds_write_b64 v9, v[7:8]
.LBB56_19:
	s_or_b64 exec, exec, s[0:1]
	v_mov_b32_e32 v8, v6
	v_cmp_gt_u32_e32 vcc, 11, v0
	v_mov_b32_e32 v7, v5
	s_waitcnt lgkmcnt(0)
	; wave barrier
	s_and_saveexec_b64 s[0:1], vcc
; %bb.20:
	v_lshl_add_u32 v7, v0, 5, v9
	ds_read_b64 v[7:8], v7
; %bb.21:
	s_or_b64 exec, exec, s[0:1]
	v_cmp_gt_u32_e64 s[0:1], 11, v0
	s_branch .LBB56_32
.LBB56_22:
                                        ; implicit-def: $vgpr7_vgpr8
	v_cmp_gt_u32_e64 s[0:1], 11, v0
	s_cbranch_execz .LBB56_32
; %bb.23:
	v_cmp_lt_u32_e32 vcc, 10, v0
	s_and_saveexec_b64 s[2:3], s[0:1]
	s_cbranch_execz .LBB56_25
; %bb.24:
	ds_read2_b64 v[10:13], v9 offset1:44
	s_waitcnt lgkmcnt(0)
	v_add_f64 v[7:8], v[12:13], v[10:11]
	ds_write_b64 v9, v[7:8]
.LBB56_25:
	s_or_b64 exec, exec, s[2:3]
	v_cmp_gt_u32_e64 s[0:1], 22, v0
	s_waitcnt lgkmcnt(0)
	; wave barrier
	s_and_saveexec_b64 s[2:3], s[0:1]
	s_cbranch_execz .LBB56_27
; %bb.26:
	ds_read2_b64 v[10:13], v9 offset1:22
	s_waitcnt lgkmcnt(0)
	v_add_f64 v[7:8], v[12:13], v[10:11]
	ds_write_b64 v9, v[7:8]
.LBB56_27:
	s_or_b64 exec, exec, s[2:3]
	s_waitcnt lgkmcnt(0)
	s_and_saveexec_b64 s[0:1], vcc
	s_xor_b64 s[0:1], exec, s[0:1]
; %bb.28:
                                        ; implicit-def: $vgpr9
; %bb.29:
	s_andn2_saveexec_b64 s[0:1], s[0:1]
	s_cbranch_execz .LBB56_31
; %bb.30:
	ds_read2_b64 v[5:8], v9 offset1:11
	s_waitcnt lgkmcnt(0)
	v_add_f64 v[5:6], v[7:8], v[5:6]
	ds_write_b64 v9, v[5:6]
	s_waitcnt lgkmcnt(0)
	ds_read_b64 v[5:6], v9
.LBB56_31:
	s_or_b64 exec, exec, s[0:1]
	s_waitcnt lgkmcnt(0)
	v_mov_b32_e32 v8, v6
	v_mov_b32_e32 v7, v5
.LBB56_32:
	v_cmp_gt_u32_e32 vcc, 11, v0
	s_and_b64 exec, exec, vcc
	s_cbranch_execz .LBB56_37
; %bb.33:
	v_cmp_eq_f64_e32 vcc, 0, v[1:2]
	s_waitcnt lgkmcnt(0)
	v_mul_f64 v[3:4], v[3:4], v[7:8]
	s_and_saveexec_b64 s[0:1], vcc
	s_xor_b64 s[0:1], exec, s[0:1]
	s_cbranch_execz .LBB56_35
; %bb.34:
	v_mad_u64_u32 v[0:1], s[2:3], s6, 11, v[0:1]
	v_mov_b32_e32 v1, 0
	v_mov_b32_e32 v2, s9
	v_lshlrev_b64 v[0:1], 3, v[0:1]
	v_add_co_u32_e32 v0, vcc, s8, v0
	v_addc_co_u32_e32 v1, vcc, v2, v1, vcc
	global_store_dwordx2 v[0:1], v[3:4], off
                                        ; implicit-def: $vgpr0
                                        ; implicit-def: $vgpr1_vgpr2
                                        ; implicit-def: $vgpr3_vgpr4
.LBB56_35:
	s_andn2_saveexec_b64 s[0:1], s[0:1]
	s_cbranch_execz .LBB56_37
; %bb.36:
	v_mad_u64_u32 v[5:6], s[0:1], s6, 11, v[0:1]
	v_mov_b32_e32 v6, 0
	v_mov_b32_e32 v0, s9
	v_lshlrev_b64 v[5:6], 3, v[5:6]
	v_add_co_u32_e32 v5, vcc, s8, v5
	v_addc_co_u32_e32 v6, vcc, v0, v6, vcc
	global_load_dwordx2 v[7:8], v[5:6], off
	s_waitcnt vmcnt(0)
	v_fma_f64 v[0:1], v[1:2], v[7:8], v[3:4]
	global_store_dwordx2 v[5:6], v[0:1], off
.LBB56_37:
	s_endpgm
	.section	.rodata,"a",@progbits
	.p2align	6, 0x0
	.amdhsa_kernel _ZN9rocsparseL22gebsrmvn_mxn_16_kernelILj55ELj11ELj5EdEEvi20rocsparse_direction_NS_24const_host_device_scalarIT2_EEPKiS6_PKS3_iiS8_S4_PS3_21rocsparse_index_base_b
		.amdhsa_group_segment_fixed_size 440
		.amdhsa_private_segment_fixed_size 0
		.amdhsa_kernarg_size 80
		.amdhsa_user_sgpr_count 6
		.amdhsa_user_sgpr_private_segment_buffer 1
		.amdhsa_user_sgpr_dispatch_ptr 0
		.amdhsa_user_sgpr_queue_ptr 0
		.amdhsa_user_sgpr_kernarg_segment_ptr 1
		.amdhsa_user_sgpr_dispatch_id 0
		.amdhsa_user_sgpr_flat_scratch_init 0
		.amdhsa_user_sgpr_private_segment_size 0
		.amdhsa_uses_dynamic_stack 0
		.amdhsa_system_sgpr_private_segment_wavefront_offset 0
		.amdhsa_system_sgpr_workgroup_id_x 1
		.amdhsa_system_sgpr_workgroup_id_y 0
		.amdhsa_system_sgpr_workgroup_id_z 0
		.amdhsa_system_sgpr_workgroup_info 0
		.amdhsa_system_vgpr_workitem_id 0
		.amdhsa_next_free_vgpr 18
		.amdhsa_next_free_sgpr 18
		.amdhsa_reserve_vcc 1
		.amdhsa_reserve_flat_scratch 0
		.amdhsa_float_round_mode_32 0
		.amdhsa_float_round_mode_16_64 0
		.amdhsa_float_denorm_mode_32 3
		.amdhsa_float_denorm_mode_16_64 3
		.amdhsa_dx10_clamp 1
		.amdhsa_ieee_mode 1
		.amdhsa_fp16_overflow 0
		.amdhsa_exception_fp_ieee_invalid_op 0
		.amdhsa_exception_fp_denorm_src 0
		.amdhsa_exception_fp_ieee_div_zero 0
		.amdhsa_exception_fp_ieee_overflow 0
		.amdhsa_exception_fp_ieee_underflow 0
		.amdhsa_exception_fp_ieee_inexact 0
		.amdhsa_exception_int_div_zero 0
	.end_amdhsa_kernel
	.section	.text._ZN9rocsparseL22gebsrmvn_mxn_16_kernelILj55ELj11ELj5EdEEvi20rocsparse_direction_NS_24const_host_device_scalarIT2_EEPKiS6_PKS3_iiS8_S4_PS3_21rocsparse_index_base_b,"axG",@progbits,_ZN9rocsparseL22gebsrmvn_mxn_16_kernelILj55ELj11ELj5EdEEvi20rocsparse_direction_NS_24const_host_device_scalarIT2_EEPKiS6_PKS3_iiS8_S4_PS3_21rocsparse_index_base_b,comdat
.Lfunc_end56:
	.size	_ZN9rocsparseL22gebsrmvn_mxn_16_kernelILj55ELj11ELj5EdEEvi20rocsparse_direction_NS_24const_host_device_scalarIT2_EEPKiS6_PKS3_iiS8_S4_PS3_21rocsparse_index_base_b, .Lfunc_end56-_ZN9rocsparseL22gebsrmvn_mxn_16_kernelILj55ELj11ELj5EdEEvi20rocsparse_direction_NS_24const_host_device_scalarIT2_EEPKiS6_PKS3_iiS8_S4_PS3_21rocsparse_index_base_b
                                        ; -- End function
	.set _ZN9rocsparseL22gebsrmvn_mxn_16_kernelILj55ELj11ELj5EdEEvi20rocsparse_direction_NS_24const_host_device_scalarIT2_EEPKiS6_PKS3_iiS8_S4_PS3_21rocsparse_index_base_b.num_vgpr, 18
	.set _ZN9rocsparseL22gebsrmvn_mxn_16_kernelILj55ELj11ELj5EdEEvi20rocsparse_direction_NS_24const_host_device_scalarIT2_EEPKiS6_PKS3_iiS8_S4_PS3_21rocsparse_index_base_b.num_agpr, 0
	.set _ZN9rocsparseL22gebsrmvn_mxn_16_kernelILj55ELj11ELj5EdEEvi20rocsparse_direction_NS_24const_host_device_scalarIT2_EEPKiS6_PKS3_iiS8_S4_PS3_21rocsparse_index_base_b.numbered_sgpr, 18
	.set _ZN9rocsparseL22gebsrmvn_mxn_16_kernelILj55ELj11ELj5EdEEvi20rocsparse_direction_NS_24const_host_device_scalarIT2_EEPKiS6_PKS3_iiS8_S4_PS3_21rocsparse_index_base_b.num_named_barrier, 0
	.set _ZN9rocsparseL22gebsrmvn_mxn_16_kernelILj55ELj11ELj5EdEEvi20rocsparse_direction_NS_24const_host_device_scalarIT2_EEPKiS6_PKS3_iiS8_S4_PS3_21rocsparse_index_base_b.private_seg_size, 0
	.set _ZN9rocsparseL22gebsrmvn_mxn_16_kernelILj55ELj11ELj5EdEEvi20rocsparse_direction_NS_24const_host_device_scalarIT2_EEPKiS6_PKS3_iiS8_S4_PS3_21rocsparse_index_base_b.uses_vcc, 1
	.set _ZN9rocsparseL22gebsrmvn_mxn_16_kernelILj55ELj11ELj5EdEEvi20rocsparse_direction_NS_24const_host_device_scalarIT2_EEPKiS6_PKS3_iiS8_S4_PS3_21rocsparse_index_base_b.uses_flat_scratch, 0
	.set _ZN9rocsparseL22gebsrmvn_mxn_16_kernelILj55ELj11ELj5EdEEvi20rocsparse_direction_NS_24const_host_device_scalarIT2_EEPKiS6_PKS3_iiS8_S4_PS3_21rocsparse_index_base_b.has_dyn_sized_stack, 0
	.set _ZN9rocsparseL22gebsrmvn_mxn_16_kernelILj55ELj11ELj5EdEEvi20rocsparse_direction_NS_24const_host_device_scalarIT2_EEPKiS6_PKS3_iiS8_S4_PS3_21rocsparse_index_base_b.has_recursion, 0
	.set _ZN9rocsparseL22gebsrmvn_mxn_16_kernelILj55ELj11ELj5EdEEvi20rocsparse_direction_NS_24const_host_device_scalarIT2_EEPKiS6_PKS3_iiS8_S4_PS3_21rocsparse_index_base_b.has_indirect_call, 0
	.section	.AMDGPU.csdata,"",@progbits
; Kernel info:
; codeLenInByte = 1084
; TotalNumSgprs: 22
; NumVgprs: 18
; ScratchSize: 0
; MemoryBound: 0
; FloatMode: 240
; IeeeMode: 1
; LDSByteSize: 440 bytes/workgroup (compile time only)
; SGPRBlocks: 2
; VGPRBlocks: 4
; NumSGPRsForWavesPerEU: 22
; NumVGPRsForWavesPerEU: 18
; Occupancy: 10
; WaveLimiterHint : 1
; COMPUTE_PGM_RSRC2:SCRATCH_EN: 0
; COMPUTE_PGM_RSRC2:USER_SGPR: 6
; COMPUTE_PGM_RSRC2:TRAP_HANDLER: 0
; COMPUTE_PGM_RSRC2:TGID_X_EN: 1
; COMPUTE_PGM_RSRC2:TGID_Y_EN: 0
; COMPUTE_PGM_RSRC2:TGID_Z_EN: 0
; COMPUTE_PGM_RSRC2:TIDIG_COMP_CNT: 0
	.section	.text._ZN9rocsparseL22gebsrmvn_mxn_16_kernelILj66ELj11ELj6EdEEvi20rocsparse_direction_NS_24const_host_device_scalarIT2_EEPKiS6_PKS3_iiS8_S4_PS3_21rocsparse_index_base_b,"axG",@progbits,_ZN9rocsparseL22gebsrmvn_mxn_16_kernelILj66ELj11ELj6EdEEvi20rocsparse_direction_NS_24const_host_device_scalarIT2_EEPKiS6_PKS3_iiS8_S4_PS3_21rocsparse_index_base_b,comdat
	.globl	_ZN9rocsparseL22gebsrmvn_mxn_16_kernelILj66ELj11ELj6EdEEvi20rocsparse_direction_NS_24const_host_device_scalarIT2_EEPKiS6_PKS3_iiS8_S4_PS3_21rocsparse_index_base_b ; -- Begin function _ZN9rocsparseL22gebsrmvn_mxn_16_kernelILj66ELj11ELj6EdEEvi20rocsparse_direction_NS_24const_host_device_scalarIT2_EEPKiS6_PKS3_iiS8_S4_PS3_21rocsparse_index_base_b
	.p2align	8
	.type	_ZN9rocsparseL22gebsrmvn_mxn_16_kernelILj66ELj11ELj6EdEEvi20rocsparse_direction_NS_24const_host_device_scalarIT2_EEPKiS6_PKS3_iiS8_S4_PS3_21rocsparse_index_base_b,@function
_ZN9rocsparseL22gebsrmvn_mxn_16_kernelILj66ELj11ELj6EdEEvi20rocsparse_direction_NS_24const_host_device_scalarIT2_EEPKiS6_PKS3_iiS8_S4_PS3_21rocsparse_index_base_b: ; @_ZN9rocsparseL22gebsrmvn_mxn_16_kernelILj66ELj11ELj6EdEEvi20rocsparse_direction_NS_24const_host_device_scalarIT2_EEPKiS6_PKS3_iiS8_S4_PS3_21rocsparse_index_base_b
; %bb.0:
	s_load_dwordx2 s[10:11], s[4:5], 0x48
	s_load_dwordx2 s[8:9], s[4:5], 0x8
	;; [unrolled: 1-line block ×3, first 2 shown]
	s_waitcnt lgkmcnt(0)
	s_bitcmp1_b32 s11, 0
	s_cselect_b64 s[12:13], -1, 0
	v_mov_b32_e32 v3, s8
	s_xor_b64 s[2:3], s[12:13], -1
	s_and_b64 vcc, exec, s[12:13]
	v_mov_b32_e32 v4, s9
	s_cbranch_vccnz .LBB57_2
; %bb.1:
	v_mov_b32_e32 v1, s8
	v_mov_b32_e32 v2, s9
	flat_load_dwordx2 v[3:4], v[1:2]
.LBB57_2:
	v_mov_b32_e32 v2, s1
	s_andn2_b64 vcc, exec, s[2:3]
	v_mov_b32_e32 v1, s0
	s_cbranch_vccnz .LBB57_4
; %bb.3:
	v_mov_b32_e32 v2, s1
	v_mov_b32_e32 v1, s0
	flat_load_dwordx2 v[1:2], v[1:2]
.LBB57_4:
	s_waitcnt vmcnt(0) lgkmcnt(0)
	v_cmp_neq_f64_e32 vcc, 0, v[3:4]
	v_cmp_neq_f64_e64 s[0:1], 1.0, v[1:2]
	s_or_b64 s[0:1], vcc, s[0:1]
	s_and_saveexec_b64 s[2:3], s[0:1]
	s_cbranch_execz .LBB57_37
; %bb.5:
	s_load_dwordx2 s[0:1], s[4:5], 0x10
	s_load_dword s2, s[4:5], 0x4
	v_mul_u32_u24_e32 v6, 0x2aab, v0
	v_mov_b32_e32 v5, 6
	v_mul_lo_u16_sdwa v6, v6, v5 dst_sel:DWORD dst_unused:UNUSED_PAD src0_sel:WORD_1 src1_sel:DWORD
	v_sub_u16_e32 v12, v0, v6
	s_waitcnt lgkmcnt(0)
	s_cmp_lg_u32 s2, 1
	s_cselect_b64 s[12:13], -1, 0
	s_and_b64 vcc, exec, s[12:13]
	v_mov_b32_e32 v7, v12
	s_cbranch_vccnz .LBB57_7
; %bb.6:
	s_movk_i32 s2, 0x1746
	v_mul_u32_u24_sdwa v6, v0, s2 dst_sel:DWORD dst_unused:UNUSED_PAD src0_sel:WORD_0 src1_sel:DWORD
	v_mov_b32_e32 v7, 43
	v_mul_lo_u16_sdwa v7, v6, v7 dst_sel:DWORD dst_unused:UNUSED_PAD src0_sel:WORD_1 src1_sel:DWORD
	v_mul_lo_u16_sdwa v5, v7, v5 dst_sel:DWORD dst_unused:UNUSED_PAD src0_sel:BYTE_1 src1_sel:DWORD
	v_sub_u16_sdwa v5, v6, v5 dst_sel:DWORD dst_unused:UNUSED_PAD src0_sel:WORD_1 src1_sel:DWORD
	v_and_b32_e32 v7, 0xff, v5
.LBB57_7:
	s_ashr_i32 s7, s6, 31
	s_lshl_b64 s[2:3], s[6:7], 2
	s_add_u32 s0, s0, s2
	s_addc_u32 s1, s1, s3
	s_load_dwordx2 s[16:17], s[0:1], 0x0
	s_load_dwordx2 s[8:9], s[4:5], 0x40
	v_mov_b32_e32 v5, 0
	v_mov_b32_e32 v6, 0
	s_waitcnt lgkmcnt(0)
	s_cmp_ge_i32 s16, s17
	s_cbranch_scc1 .LBB57_12
; %bb.8:
	s_load_dwordx4 s[0:3], s[4:5], 0x18
	s_load_dwordx2 s[14:15], s[4:5], 0x30
	s_movk_i32 s4, 0x3e1
	v_mul_u32_u24_sdwa v13, v0, s4 dst_sel:DWORD dst_unused:UNUSED_PAD src0_sel:WORD_0 src1_sel:DWORD
	s_mul_i32 s4, s16, 0x42
	v_add_u32_e32 v5, s4, v0
	s_mul_i32 s4, s10, 0x42
	v_subrev_u32_e32 v8, s4, v5
	v_mov_b32_e32 v5, 0
	s_sub_i32 s7, s17, s10
	s_sub_i32 s11, s16, s10
	v_mov_b32_e32 v6, 0
	v_mov_b32_e32 v9, 0
	s_branch .LBB57_10
.LBB57_9:                               ;   in Loop: Header=BB57_10 Depth=1
	s_or_b64 exec, exec, s[4:5]
	s_add_i32 s11, s11, 1
	s_cmp_ge_i32 s11, s7
	v_add_u32_e32 v8, 0x42, v8
	s_cbranch_scc1 .LBB57_12
.LBB57_10:                              ; =>This Inner Loop Header: Depth=1
	v_add_u32_sdwa v10, v13, s11 dst_sel:DWORD dst_unused:UNUSED_PAD src0_sel:WORD_1 src1_sel:DWORD
	v_cmp_gt_i32_e32 vcc, s7, v10
	s_and_saveexec_b64 s[4:5], vcc
	s_cbranch_execz .LBB57_9
; %bb.11:                               ;   in Loop: Header=BB57_10 Depth=1
	v_ashrrev_i32_e32 v11, 31, v10
	v_lshlrev_b64 v[10:11], 2, v[10:11]
	s_waitcnt lgkmcnt(0)
	v_mov_b32_e32 v14, s1
	v_add_co_u32_e32 v10, vcc, s0, v10
	v_addc_co_u32_e32 v11, vcc, v14, v11, vcc
	global_load_dword v14, v[10:11], off
	v_lshlrev_b64 v[10:11], 3, v[8:9]
	v_mov_b32_e32 v16, s3
	v_add_co_u32_e32 v10, vcc, s2, v10
	v_addc_co_u32_e32 v11, vcc, v16, v11, vcc
	v_mov_b32_e32 v17, s15
	global_load_dwordx2 v[10:11], v[10:11], off
	s_waitcnt vmcnt(1)
	v_subrev_u32_e32 v14, s10, v14
	v_mad_u64_u32 v[14:15], s[16:17], v14, 6, v[7:8]
	v_ashrrev_i32_e32 v15, 31, v14
	v_lshlrev_b64 v[14:15], 3, v[14:15]
	v_add_co_u32_e32 v14, vcc, s14, v14
	v_addc_co_u32_e32 v15, vcc, v17, v15, vcc
	global_load_dwordx2 v[14:15], v[14:15], off
	s_waitcnt vmcnt(0)
	v_fma_f64 v[5:6], v[10:11], v[14:15], v[5:6]
	s_branch .LBB57_9
.LBB57_12:
	v_lshlrev_b32_e32 v9, 3, v0
	s_and_b64 vcc, exec, s[12:13]
	ds_write_b64 v9, v[5:6]
	s_waitcnt lgkmcnt(0)
	s_barrier
	s_cbranch_vccz .LBB57_22
; %bb.13:
	v_cmp_gt_u16_e32 vcc, 2, v12
	s_and_saveexec_b64 s[0:1], vcc
	s_cbranch_execz .LBB57_15
; %bb.14:
	ds_read2_b64 v[13:16], v9 offset1:4
	s_waitcnt lgkmcnt(0)
	v_add_f64 v[7:8], v[15:16], v[13:14]
	ds_write_b64 v9, v[7:8]
.LBB57_15:
	s_or_b64 exec, exec, s[0:1]
	s_waitcnt lgkmcnt(0)
	s_barrier
	s_and_saveexec_b64 s[0:1], vcc
	s_cbranch_execz .LBB57_17
; %bb.16:
	ds_read2_b64 v[13:16], v9 offset1:2
	s_waitcnt lgkmcnt(0)
	v_add_f64 v[7:8], v[15:16], v[13:14]
	ds_write_b64 v9, v[7:8]
.LBB57_17:
	s_or_b64 exec, exec, s[0:1]
	v_cmp_eq_u16_e32 vcc, 0, v12
	s_waitcnt lgkmcnt(0)
	s_barrier
	s_and_saveexec_b64 s[0:1], vcc
	s_cbranch_execz .LBB57_19
; %bb.18:
	ds_read2_b64 v[10:13], v9 offset1:1
	s_waitcnt lgkmcnt(0)
	v_add_f64 v[7:8], v[12:13], v[10:11]
	ds_write_b64 v9, v[7:8]
.LBB57_19:
	s_or_b64 exec, exec, s[0:1]
	v_mov_b32_e32 v8, v6
	v_cmp_gt_u32_e32 vcc, 11, v0
	v_mov_b32_e32 v7, v5
	s_waitcnt lgkmcnt(0)
	s_barrier
	s_and_saveexec_b64 s[0:1], vcc
; %bb.20:
	v_mad_u32_u24 v7, v0, 40, v9
	ds_read_b64 v[7:8], v7
; %bb.21:
	s_or_b64 exec, exec, s[0:1]
	s_branch .LBB57_32
.LBB57_22:
                                        ; implicit-def: $vgpr7_vgpr8
	s_cbranch_execz .LBB57_32
; %bb.23:
	v_cmp_gt_u32_e32 vcc, 22, v0
	s_and_saveexec_b64 s[0:1], vcc
	s_cbranch_execz .LBB57_25
; %bb.24:
	ds_read2_b64 v[10:13], v9 offset1:44
	s_waitcnt lgkmcnt(0)
	v_add_f64 v[7:8], v[12:13], v[10:11]
	ds_write_b64 v9, v[7:8]
.LBB57_25:
	s_or_b64 exec, exec, s[0:1]
	s_waitcnt lgkmcnt(0)
	s_barrier
	s_and_saveexec_b64 s[0:1], vcc
	s_cbranch_execz .LBB57_27
; %bb.26:
	ds_read2_b64 v[10:13], v9 offset1:22
	s_waitcnt lgkmcnt(0)
	v_add_f64 v[7:8], v[12:13], v[10:11]
	ds_write_b64 v9, v[7:8]
.LBB57_27:
	s_or_b64 exec, exec, s[0:1]
	v_cmp_lt_u32_e32 vcc, 10, v0
	s_waitcnt lgkmcnt(0)
	s_and_saveexec_b64 s[0:1], vcc
	s_xor_b64 s[0:1], exec, s[0:1]
; %bb.28:
                                        ; implicit-def: $vgpr9
; %bb.29:
	s_andn2_saveexec_b64 s[0:1], s[0:1]
	s_cbranch_execz .LBB57_31
; %bb.30:
	ds_read2_b64 v[5:8], v9 offset1:11
	s_waitcnt lgkmcnt(0)
	v_add_f64 v[5:6], v[7:8], v[5:6]
	ds_write_b64 v9, v[5:6]
	s_waitcnt lgkmcnt(0)
	ds_read_b64 v[5:6], v9
.LBB57_31:
	s_or_b64 exec, exec, s[0:1]
	s_waitcnt lgkmcnt(0)
	v_mov_b32_e32 v8, v6
	v_mov_b32_e32 v7, v5
.LBB57_32:
	v_cmp_gt_u32_e32 vcc, 11, v0
	s_and_b64 exec, exec, vcc
	s_cbranch_execz .LBB57_37
; %bb.33:
	v_cmp_eq_f64_e32 vcc, 0, v[1:2]
	s_waitcnt lgkmcnt(0)
	v_mul_f64 v[3:4], v[3:4], v[7:8]
	s_and_saveexec_b64 s[0:1], vcc
	s_xor_b64 s[0:1], exec, s[0:1]
	s_cbranch_execz .LBB57_35
; %bb.34:
	v_mad_u64_u32 v[0:1], s[2:3], s6, 11, v[0:1]
	v_mov_b32_e32 v1, 0
	v_mov_b32_e32 v2, s9
	v_lshlrev_b64 v[0:1], 3, v[0:1]
	v_add_co_u32_e32 v0, vcc, s8, v0
	v_addc_co_u32_e32 v1, vcc, v2, v1, vcc
	global_store_dwordx2 v[0:1], v[3:4], off
                                        ; implicit-def: $vgpr0
                                        ; implicit-def: $vgpr1_vgpr2
                                        ; implicit-def: $vgpr3_vgpr4
.LBB57_35:
	s_andn2_saveexec_b64 s[0:1], s[0:1]
	s_cbranch_execz .LBB57_37
; %bb.36:
	v_mad_u64_u32 v[5:6], s[0:1], s6, 11, v[0:1]
	v_mov_b32_e32 v6, 0
	v_mov_b32_e32 v0, s9
	v_lshlrev_b64 v[5:6], 3, v[5:6]
	v_add_co_u32_e32 v5, vcc, s8, v5
	v_addc_co_u32_e32 v6, vcc, v0, v6, vcc
	global_load_dwordx2 v[7:8], v[5:6], off
	s_waitcnt vmcnt(0)
	v_fma_f64 v[0:1], v[1:2], v[7:8], v[3:4]
	global_store_dwordx2 v[5:6], v[0:1], off
.LBB57_37:
	s_endpgm
	.section	.rodata,"a",@progbits
	.p2align	6, 0x0
	.amdhsa_kernel _ZN9rocsparseL22gebsrmvn_mxn_16_kernelILj66ELj11ELj6EdEEvi20rocsparse_direction_NS_24const_host_device_scalarIT2_EEPKiS6_PKS3_iiS8_S4_PS3_21rocsparse_index_base_b
		.amdhsa_group_segment_fixed_size 528
		.amdhsa_private_segment_fixed_size 0
		.amdhsa_kernarg_size 80
		.amdhsa_user_sgpr_count 6
		.amdhsa_user_sgpr_private_segment_buffer 1
		.amdhsa_user_sgpr_dispatch_ptr 0
		.amdhsa_user_sgpr_queue_ptr 0
		.amdhsa_user_sgpr_kernarg_segment_ptr 1
		.amdhsa_user_sgpr_dispatch_id 0
		.amdhsa_user_sgpr_flat_scratch_init 0
		.amdhsa_user_sgpr_private_segment_size 0
		.amdhsa_uses_dynamic_stack 0
		.amdhsa_system_sgpr_private_segment_wavefront_offset 0
		.amdhsa_system_sgpr_workgroup_id_x 1
		.amdhsa_system_sgpr_workgroup_id_y 0
		.amdhsa_system_sgpr_workgroup_id_z 0
		.amdhsa_system_sgpr_workgroup_info 0
		.amdhsa_system_vgpr_workitem_id 0
		.amdhsa_next_free_vgpr 18
		.amdhsa_next_free_sgpr 18
		.amdhsa_reserve_vcc 1
		.amdhsa_reserve_flat_scratch 0
		.amdhsa_float_round_mode_32 0
		.amdhsa_float_round_mode_16_64 0
		.amdhsa_float_denorm_mode_32 3
		.amdhsa_float_denorm_mode_16_64 3
		.amdhsa_dx10_clamp 1
		.amdhsa_ieee_mode 1
		.amdhsa_fp16_overflow 0
		.amdhsa_exception_fp_ieee_invalid_op 0
		.amdhsa_exception_fp_denorm_src 0
		.amdhsa_exception_fp_ieee_div_zero 0
		.amdhsa_exception_fp_ieee_overflow 0
		.amdhsa_exception_fp_ieee_underflow 0
		.amdhsa_exception_fp_ieee_inexact 0
		.amdhsa_exception_int_div_zero 0
	.end_amdhsa_kernel
	.section	.text._ZN9rocsparseL22gebsrmvn_mxn_16_kernelILj66ELj11ELj6EdEEvi20rocsparse_direction_NS_24const_host_device_scalarIT2_EEPKiS6_PKS3_iiS8_S4_PS3_21rocsparse_index_base_b,"axG",@progbits,_ZN9rocsparseL22gebsrmvn_mxn_16_kernelILj66ELj11ELj6EdEEvi20rocsparse_direction_NS_24const_host_device_scalarIT2_EEPKiS6_PKS3_iiS8_S4_PS3_21rocsparse_index_base_b,comdat
.Lfunc_end57:
	.size	_ZN9rocsparseL22gebsrmvn_mxn_16_kernelILj66ELj11ELj6EdEEvi20rocsparse_direction_NS_24const_host_device_scalarIT2_EEPKiS6_PKS3_iiS8_S4_PS3_21rocsparse_index_base_b, .Lfunc_end57-_ZN9rocsparseL22gebsrmvn_mxn_16_kernelILj66ELj11ELj6EdEEvi20rocsparse_direction_NS_24const_host_device_scalarIT2_EEPKiS6_PKS3_iiS8_S4_PS3_21rocsparse_index_base_b
                                        ; -- End function
	.set _ZN9rocsparseL22gebsrmvn_mxn_16_kernelILj66ELj11ELj6EdEEvi20rocsparse_direction_NS_24const_host_device_scalarIT2_EEPKiS6_PKS3_iiS8_S4_PS3_21rocsparse_index_base_b.num_vgpr, 18
	.set _ZN9rocsparseL22gebsrmvn_mxn_16_kernelILj66ELj11ELj6EdEEvi20rocsparse_direction_NS_24const_host_device_scalarIT2_EEPKiS6_PKS3_iiS8_S4_PS3_21rocsparse_index_base_b.num_agpr, 0
	.set _ZN9rocsparseL22gebsrmvn_mxn_16_kernelILj66ELj11ELj6EdEEvi20rocsparse_direction_NS_24const_host_device_scalarIT2_EEPKiS6_PKS3_iiS8_S4_PS3_21rocsparse_index_base_b.numbered_sgpr, 18
	.set _ZN9rocsparseL22gebsrmvn_mxn_16_kernelILj66ELj11ELj6EdEEvi20rocsparse_direction_NS_24const_host_device_scalarIT2_EEPKiS6_PKS3_iiS8_S4_PS3_21rocsparse_index_base_b.num_named_barrier, 0
	.set _ZN9rocsparseL22gebsrmvn_mxn_16_kernelILj66ELj11ELj6EdEEvi20rocsparse_direction_NS_24const_host_device_scalarIT2_EEPKiS6_PKS3_iiS8_S4_PS3_21rocsparse_index_base_b.private_seg_size, 0
	.set _ZN9rocsparseL22gebsrmvn_mxn_16_kernelILj66ELj11ELj6EdEEvi20rocsparse_direction_NS_24const_host_device_scalarIT2_EEPKiS6_PKS3_iiS8_S4_PS3_21rocsparse_index_base_b.uses_vcc, 1
	.set _ZN9rocsparseL22gebsrmvn_mxn_16_kernelILj66ELj11ELj6EdEEvi20rocsparse_direction_NS_24const_host_device_scalarIT2_EEPKiS6_PKS3_iiS8_S4_PS3_21rocsparse_index_base_b.uses_flat_scratch, 0
	.set _ZN9rocsparseL22gebsrmvn_mxn_16_kernelILj66ELj11ELj6EdEEvi20rocsparse_direction_NS_24const_host_device_scalarIT2_EEPKiS6_PKS3_iiS8_S4_PS3_21rocsparse_index_base_b.has_dyn_sized_stack, 0
	.set _ZN9rocsparseL22gebsrmvn_mxn_16_kernelILj66ELj11ELj6EdEEvi20rocsparse_direction_NS_24const_host_device_scalarIT2_EEPKiS6_PKS3_iiS8_S4_PS3_21rocsparse_index_base_b.has_recursion, 0
	.set _ZN9rocsparseL22gebsrmvn_mxn_16_kernelILj66ELj11ELj6EdEEvi20rocsparse_direction_NS_24const_host_device_scalarIT2_EEPKiS6_PKS3_iiS8_S4_PS3_21rocsparse_index_base_b.has_indirect_call, 0
	.section	.AMDGPU.csdata,"",@progbits
; Kernel info:
; codeLenInByte = 1092
; TotalNumSgprs: 22
; NumVgprs: 18
; ScratchSize: 0
; MemoryBound: 0
; FloatMode: 240
; IeeeMode: 1
; LDSByteSize: 528 bytes/workgroup (compile time only)
; SGPRBlocks: 2
; VGPRBlocks: 4
; NumSGPRsForWavesPerEU: 22
; NumVGPRsForWavesPerEU: 18
; Occupancy: 10
; WaveLimiterHint : 1
; COMPUTE_PGM_RSRC2:SCRATCH_EN: 0
; COMPUTE_PGM_RSRC2:USER_SGPR: 6
; COMPUTE_PGM_RSRC2:TRAP_HANDLER: 0
; COMPUTE_PGM_RSRC2:TGID_X_EN: 1
; COMPUTE_PGM_RSRC2:TGID_Y_EN: 0
; COMPUTE_PGM_RSRC2:TGID_Z_EN: 0
; COMPUTE_PGM_RSRC2:TIDIG_COMP_CNT: 0
	.section	.text._ZN9rocsparseL22gebsrmvn_mxn_16_kernelILj77ELj11ELj7EdEEvi20rocsparse_direction_NS_24const_host_device_scalarIT2_EEPKiS6_PKS3_iiS8_S4_PS3_21rocsparse_index_base_b,"axG",@progbits,_ZN9rocsparseL22gebsrmvn_mxn_16_kernelILj77ELj11ELj7EdEEvi20rocsparse_direction_NS_24const_host_device_scalarIT2_EEPKiS6_PKS3_iiS8_S4_PS3_21rocsparse_index_base_b,comdat
	.globl	_ZN9rocsparseL22gebsrmvn_mxn_16_kernelILj77ELj11ELj7EdEEvi20rocsparse_direction_NS_24const_host_device_scalarIT2_EEPKiS6_PKS3_iiS8_S4_PS3_21rocsparse_index_base_b ; -- Begin function _ZN9rocsparseL22gebsrmvn_mxn_16_kernelILj77ELj11ELj7EdEEvi20rocsparse_direction_NS_24const_host_device_scalarIT2_EEPKiS6_PKS3_iiS8_S4_PS3_21rocsparse_index_base_b
	.p2align	8
	.type	_ZN9rocsparseL22gebsrmvn_mxn_16_kernelILj77ELj11ELj7EdEEvi20rocsparse_direction_NS_24const_host_device_scalarIT2_EEPKiS6_PKS3_iiS8_S4_PS3_21rocsparse_index_base_b,@function
_ZN9rocsparseL22gebsrmvn_mxn_16_kernelILj77ELj11ELj7EdEEvi20rocsparse_direction_NS_24const_host_device_scalarIT2_EEPKiS6_PKS3_iiS8_S4_PS3_21rocsparse_index_base_b: ; @_ZN9rocsparseL22gebsrmvn_mxn_16_kernelILj77ELj11ELj7EdEEvi20rocsparse_direction_NS_24const_host_device_scalarIT2_EEPKiS6_PKS3_iiS8_S4_PS3_21rocsparse_index_base_b
; %bb.0:
	s_load_dwordx2 s[10:11], s[4:5], 0x48
	s_load_dwordx2 s[8:9], s[4:5], 0x8
	;; [unrolled: 1-line block ×3, first 2 shown]
	s_waitcnt lgkmcnt(0)
	s_bitcmp1_b32 s11, 0
	s_cselect_b64 s[12:13], -1, 0
	v_mov_b32_e32 v3, s8
	s_xor_b64 s[2:3], s[12:13], -1
	s_and_b64 vcc, exec, s[12:13]
	v_mov_b32_e32 v4, s9
	s_cbranch_vccnz .LBB58_2
; %bb.1:
	v_mov_b32_e32 v1, s8
	v_mov_b32_e32 v2, s9
	flat_load_dwordx2 v[3:4], v[1:2]
.LBB58_2:
	v_mov_b32_e32 v2, s1
	s_andn2_b64 vcc, exec, s[2:3]
	v_mov_b32_e32 v1, s0
	s_cbranch_vccnz .LBB58_4
; %bb.3:
	v_mov_b32_e32 v2, s1
	v_mov_b32_e32 v1, s0
	flat_load_dwordx2 v[1:2], v[1:2]
.LBB58_4:
	s_waitcnt vmcnt(0) lgkmcnt(0)
	v_cmp_neq_f64_e32 vcc, 0, v[3:4]
	v_cmp_neq_f64_e64 s[0:1], 1.0, v[1:2]
	s_or_b64 s[0:1], vcc, s[0:1]
	s_and_saveexec_b64 s[2:3], s[0:1]
	s_cbranch_execz .LBB58_37
; %bb.5:
	s_load_dwordx2 s[0:1], s[4:5], 0x10
	s_load_dword s2, s[4:5], 0x4
	v_mul_u32_u24_e32 v6, 0x2493, v0
	v_mov_b32_e32 v5, 7
	v_mul_lo_u16_sdwa v6, v6, v5 dst_sel:DWORD dst_unused:UNUSED_PAD src0_sel:WORD_1 src1_sel:DWORD
	v_sub_u16_e32 v12, v0, v6
	s_waitcnt lgkmcnt(0)
	s_cmp_lg_u32 s2, 1
	s_cselect_b64 s[12:13], -1, 0
	s_and_b64 vcc, exec, s[12:13]
	v_mov_b32_e32 v7, v12
	s_cbranch_vccnz .LBB58_7
; %bb.6:
	s_movk_i32 s2, 0x1746
	v_mul_u32_u24_sdwa v6, v0, s2 dst_sel:DWORD dst_unused:UNUSED_PAD src0_sel:WORD_0 src1_sel:DWORD
	v_mov_b32_e32 v7, 37
	v_mul_lo_u16_sdwa v7, v6, v7 dst_sel:DWORD dst_unused:UNUSED_PAD src0_sel:WORD_1 src1_sel:DWORD
	v_mul_lo_u16_sdwa v5, v7, v5 dst_sel:DWORD dst_unused:UNUSED_PAD src0_sel:BYTE_1 src1_sel:DWORD
	v_sub_u16_sdwa v5, v6, v5 dst_sel:DWORD dst_unused:UNUSED_PAD src0_sel:WORD_1 src1_sel:DWORD
	v_and_b32_e32 v7, 0xff, v5
.LBB58_7:
	s_ashr_i32 s7, s6, 31
	s_lshl_b64 s[2:3], s[6:7], 2
	s_add_u32 s0, s0, s2
	s_addc_u32 s1, s1, s3
	s_load_dwordx2 s[16:17], s[0:1], 0x0
	s_load_dwordx2 s[8:9], s[4:5], 0x40
	v_mov_b32_e32 v5, 0
	v_mov_b32_e32 v6, 0
	s_waitcnt lgkmcnt(0)
	s_cmp_ge_i32 s16, s17
	s_cbranch_scc1 .LBB58_12
; %bb.8:
	s_load_dwordx4 s[0:3], s[4:5], 0x18
	s_load_dwordx2 s[14:15], s[4:5], 0x30
	s_movk_i32 s4, 0x354
	v_mul_u32_u24_sdwa v13, v0, s4 dst_sel:DWORD dst_unused:UNUSED_PAD src0_sel:WORD_0 src1_sel:DWORD
	s_mul_i32 s4, s16, 0x4d
	v_add_u32_e32 v5, s4, v0
	s_mul_i32 s4, s10, 0x4d
	v_subrev_u32_e32 v8, s4, v5
	v_mov_b32_e32 v5, 0
	s_sub_i32 s7, s17, s10
	s_sub_i32 s11, s16, s10
	v_mov_b32_e32 v6, 0
	v_mov_b32_e32 v9, 0
	s_branch .LBB58_10
.LBB58_9:                               ;   in Loop: Header=BB58_10 Depth=1
	s_or_b64 exec, exec, s[4:5]
	s_add_i32 s11, s11, 1
	s_cmp_ge_i32 s11, s7
	v_add_u32_e32 v8, 0x4d, v8
	s_cbranch_scc1 .LBB58_12
.LBB58_10:                              ; =>This Inner Loop Header: Depth=1
	v_add_u32_sdwa v10, v13, s11 dst_sel:DWORD dst_unused:UNUSED_PAD src0_sel:WORD_1 src1_sel:DWORD
	v_cmp_gt_i32_e32 vcc, s7, v10
	s_and_saveexec_b64 s[4:5], vcc
	s_cbranch_execz .LBB58_9
; %bb.11:                               ;   in Loop: Header=BB58_10 Depth=1
	v_ashrrev_i32_e32 v11, 31, v10
	v_lshlrev_b64 v[10:11], 2, v[10:11]
	s_waitcnt lgkmcnt(0)
	v_mov_b32_e32 v14, s1
	v_add_co_u32_e32 v10, vcc, s0, v10
	v_addc_co_u32_e32 v11, vcc, v14, v11, vcc
	global_load_dword v14, v[10:11], off
	v_lshlrev_b64 v[10:11], 3, v[8:9]
	v_mov_b32_e32 v16, s3
	v_add_co_u32_e32 v10, vcc, s2, v10
	v_addc_co_u32_e32 v11, vcc, v16, v11, vcc
	v_mov_b32_e32 v17, s15
	global_load_dwordx2 v[10:11], v[10:11], off
	s_waitcnt vmcnt(1)
	v_subrev_u32_e32 v14, s10, v14
	v_mad_u64_u32 v[14:15], s[16:17], v14, 7, v[7:8]
	v_ashrrev_i32_e32 v15, 31, v14
	v_lshlrev_b64 v[14:15], 3, v[14:15]
	v_add_co_u32_e32 v14, vcc, s14, v14
	v_addc_co_u32_e32 v15, vcc, v17, v15, vcc
	global_load_dwordx2 v[14:15], v[14:15], off
	s_waitcnt vmcnt(0)
	v_fma_f64 v[5:6], v[10:11], v[14:15], v[5:6]
	s_branch .LBB58_9
.LBB58_12:
	v_lshlrev_b32_e32 v9, 3, v0
	s_and_b64 vcc, exec, s[12:13]
	ds_write_b64 v9, v[5:6]
	s_waitcnt lgkmcnt(0)
	s_barrier
	s_cbranch_vccz .LBB58_22
; %bb.13:
	v_cmp_gt_u16_e32 vcc, 3, v12
	s_and_saveexec_b64 s[0:1], vcc
	s_cbranch_execz .LBB58_15
; %bb.14:
	ds_read2_b64 v[13:16], v9 offset1:4
	s_waitcnt lgkmcnt(0)
	v_add_f64 v[7:8], v[15:16], v[13:14]
	ds_write_b64 v9, v[7:8]
.LBB58_15:
	s_or_b64 exec, exec, s[0:1]
	v_cmp_gt_u16_e32 vcc, 2, v12
	s_waitcnt lgkmcnt(0)
	s_barrier
	s_and_saveexec_b64 s[0:1], vcc
	s_cbranch_execz .LBB58_17
; %bb.16:
	ds_read2_b64 v[13:16], v9 offset1:2
	s_waitcnt lgkmcnt(0)
	v_add_f64 v[7:8], v[15:16], v[13:14]
	ds_write_b64 v9, v[7:8]
.LBB58_17:
	s_or_b64 exec, exec, s[0:1]
	v_cmp_eq_u16_e32 vcc, 0, v12
	s_waitcnt lgkmcnt(0)
	s_barrier
	s_and_saveexec_b64 s[0:1], vcc
	s_cbranch_execz .LBB58_19
; %bb.18:
	ds_read2_b64 v[10:13], v9 offset1:1
	s_waitcnt lgkmcnt(0)
	v_add_f64 v[7:8], v[12:13], v[10:11]
	ds_write_b64 v9, v[7:8]
.LBB58_19:
	s_or_b64 exec, exec, s[0:1]
	v_mov_b32_e32 v8, v6
	v_cmp_gt_u32_e32 vcc, 11, v0
	v_mov_b32_e32 v7, v5
	s_waitcnt lgkmcnt(0)
	s_barrier
	s_and_saveexec_b64 s[0:1], vcc
; %bb.20:
	v_mad_u32_u24 v7, v0, 48, v9
	ds_read_b64 v[7:8], v7
; %bb.21:
	s_or_b64 exec, exec, s[0:1]
	s_branch .LBB58_32
.LBB58_22:
                                        ; implicit-def: $vgpr7_vgpr8
	s_cbranch_execz .LBB58_32
; %bb.23:
	v_cmp_gt_u32_e32 vcc, 33, v0
	s_and_saveexec_b64 s[0:1], vcc
	s_cbranch_execz .LBB58_25
; %bb.24:
	ds_read2_b64 v[10:13], v9 offset1:44
	s_waitcnt lgkmcnt(0)
	v_add_f64 v[7:8], v[12:13], v[10:11]
	ds_write_b64 v9, v[7:8]
.LBB58_25:
	s_or_b64 exec, exec, s[0:1]
	v_cmp_gt_u32_e32 vcc, 22, v0
	s_waitcnt lgkmcnt(0)
	s_barrier
	s_and_saveexec_b64 s[0:1], vcc
	s_cbranch_execz .LBB58_27
; %bb.26:
	ds_read2_b64 v[10:13], v9 offset1:22
	s_waitcnt lgkmcnt(0)
	v_add_f64 v[7:8], v[12:13], v[10:11]
	ds_write_b64 v9, v[7:8]
.LBB58_27:
	s_or_b64 exec, exec, s[0:1]
	v_cmp_lt_u32_e32 vcc, 10, v0
	s_waitcnt lgkmcnt(0)
	s_and_saveexec_b64 s[0:1], vcc
	s_xor_b64 s[0:1], exec, s[0:1]
; %bb.28:
                                        ; implicit-def: $vgpr9
; %bb.29:
	s_andn2_saveexec_b64 s[0:1], s[0:1]
	s_cbranch_execz .LBB58_31
; %bb.30:
	ds_read2_b64 v[5:8], v9 offset1:11
	s_waitcnt lgkmcnt(0)
	v_add_f64 v[5:6], v[7:8], v[5:6]
	ds_write_b64 v9, v[5:6]
	s_waitcnt lgkmcnt(0)
	ds_read_b64 v[5:6], v9
.LBB58_31:
	s_or_b64 exec, exec, s[0:1]
	s_waitcnt lgkmcnt(0)
	v_mov_b32_e32 v8, v6
	v_mov_b32_e32 v7, v5
.LBB58_32:
	v_cmp_gt_u32_e32 vcc, 11, v0
	s_and_b64 exec, exec, vcc
	s_cbranch_execz .LBB58_37
; %bb.33:
	v_cmp_eq_f64_e32 vcc, 0, v[1:2]
	s_waitcnt lgkmcnt(0)
	v_mul_f64 v[3:4], v[3:4], v[7:8]
	s_and_saveexec_b64 s[0:1], vcc
	s_xor_b64 s[0:1], exec, s[0:1]
	s_cbranch_execz .LBB58_35
; %bb.34:
	v_mad_u64_u32 v[0:1], s[2:3], s6, 11, v[0:1]
	v_mov_b32_e32 v1, 0
	v_mov_b32_e32 v2, s9
	v_lshlrev_b64 v[0:1], 3, v[0:1]
	v_add_co_u32_e32 v0, vcc, s8, v0
	v_addc_co_u32_e32 v1, vcc, v2, v1, vcc
	global_store_dwordx2 v[0:1], v[3:4], off
                                        ; implicit-def: $vgpr0
                                        ; implicit-def: $vgpr1_vgpr2
                                        ; implicit-def: $vgpr3_vgpr4
.LBB58_35:
	s_andn2_saveexec_b64 s[0:1], s[0:1]
	s_cbranch_execz .LBB58_37
; %bb.36:
	v_mad_u64_u32 v[5:6], s[0:1], s6, 11, v[0:1]
	v_mov_b32_e32 v6, 0
	v_mov_b32_e32 v0, s9
	v_lshlrev_b64 v[5:6], 3, v[5:6]
	v_add_co_u32_e32 v5, vcc, s8, v5
	v_addc_co_u32_e32 v6, vcc, v0, v6, vcc
	global_load_dwordx2 v[7:8], v[5:6], off
	s_waitcnt vmcnt(0)
	v_fma_f64 v[0:1], v[1:2], v[7:8], v[3:4]
	global_store_dwordx2 v[5:6], v[0:1], off
.LBB58_37:
	s_endpgm
	.section	.rodata,"a",@progbits
	.p2align	6, 0x0
	.amdhsa_kernel _ZN9rocsparseL22gebsrmvn_mxn_16_kernelILj77ELj11ELj7EdEEvi20rocsparse_direction_NS_24const_host_device_scalarIT2_EEPKiS6_PKS3_iiS8_S4_PS3_21rocsparse_index_base_b
		.amdhsa_group_segment_fixed_size 616
		.amdhsa_private_segment_fixed_size 0
		.amdhsa_kernarg_size 80
		.amdhsa_user_sgpr_count 6
		.amdhsa_user_sgpr_private_segment_buffer 1
		.amdhsa_user_sgpr_dispatch_ptr 0
		.amdhsa_user_sgpr_queue_ptr 0
		.amdhsa_user_sgpr_kernarg_segment_ptr 1
		.amdhsa_user_sgpr_dispatch_id 0
		.amdhsa_user_sgpr_flat_scratch_init 0
		.amdhsa_user_sgpr_private_segment_size 0
		.amdhsa_uses_dynamic_stack 0
		.amdhsa_system_sgpr_private_segment_wavefront_offset 0
		.amdhsa_system_sgpr_workgroup_id_x 1
		.amdhsa_system_sgpr_workgroup_id_y 0
		.amdhsa_system_sgpr_workgroup_id_z 0
		.amdhsa_system_sgpr_workgroup_info 0
		.amdhsa_system_vgpr_workitem_id 0
		.amdhsa_next_free_vgpr 18
		.amdhsa_next_free_sgpr 18
		.amdhsa_reserve_vcc 1
		.amdhsa_reserve_flat_scratch 0
		.amdhsa_float_round_mode_32 0
		.amdhsa_float_round_mode_16_64 0
		.amdhsa_float_denorm_mode_32 3
		.amdhsa_float_denorm_mode_16_64 3
		.amdhsa_dx10_clamp 1
		.amdhsa_ieee_mode 1
		.amdhsa_fp16_overflow 0
		.amdhsa_exception_fp_ieee_invalid_op 0
		.amdhsa_exception_fp_denorm_src 0
		.amdhsa_exception_fp_ieee_div_zero 0
		.amdhsa_exception_fp_ieee_overflow 0
		.amdhsa_exception_fp_ieee_underflow 0
		.amdhsa_exception_fp_ieee_inexact 0
		.amdhsa_exception_int_div_zero 0
	.end_amdhsa_kernel
	.section	.text._ZN9rocsparseL22gebsrmvn_mxn_16_kernelILj77ELj11ELj7EdEEvi20rocsparse_direction_NS_24const_host_device_scalarIT2_EEPKiS6_PKS3_iiS8_S4_PS3_21rocsparse_index_base_b,"axG",@progbits,_ZN9rocsparseL22gebsrmvn_mxn_16_kernelILj77ELj11ELj7EdEEvi20rocsparse_direction_NS_24const_host_device_scalarIT2_EEPKiS6_PKS3_iiS8_S4_PS3_21rocsparse_index_base_b,comdat
.Lfunc_end58:
	.size	_ZN9rocsparseL22gebsrmvn_mxn_16_kernelILj77ELj11ELj7EdEEvi20rocsparse_direction_NS_24const_host_device_scalarIT2_EEPKiS6_PKS3_iiS8_S4_PS3_21rocsparse_index_base_b, .Lfunc_end58-_ZN9rocsparseL22gebsrmvn_mxn_16_kernelILj77ELj11ELj7EdEEvi20rocsparse_direction_NS_24const_host_device_scalarIT2_EEPKiS6_PKS3_iiS8_S4_PS3_21rocsparse_index_base_b
                                        ; -- End function
	.set _ZN9rocsparseL22gebsrmvn_mxn_16_kernelILj77ELj11ELj7EdEEvi20rocsparse_direction_NS_24const_host_device_scalarIT2_EEPKiS6_PKS3_iiS8_S4_PS3_21rocsparse_index_base_b.num_vgpr, 18
	.set _ZN9rocsparseL22gebsrmvn_mxn_16_kernelILj77ELj11ELj7EdEEvi20rocsparse_direction_NS_24const_host_device_scalarIT2_EEPKiS6_PKS3_iiS8_S4_PS3_21rocsparse_index_base_b.num_agpr, 0
	.set _ZN9rocsparseL22gebsrmvn_mxn_16_kernelILj77ELj11ELj7EdEEvi20rocsparse_direction_NS_24const_host_device_scalarIT2_EEPKiS6_PKS3_iiS8_S4_PS3_21rocsparse_index_base_b.numbered_sgpr, 18
	.set _ZN9rocsparseL22gebsrmvn_mxn_16_kernelILj77ELj11ELj7EdEEvi20rocsparse_direction_NS_24const_host_device_scalarIT2_EEPKiS6_PKS3_iiS8_S4_PS3_21rocsparse_index_base_b.num_named_barrier, 0
	.set _ZN9rocsparseL22gebsrmvn_mxn_16_kernelILj77ELj11ELj7EdEEvi20rocsparse_direction_NS_24const_host_device_scalarIT2_EEPKiS6_PKS3_iiS8_S4_PS3_21rocsparse_index_base_b.private_seg_size, 0
	.set _ZN9rocsparseL22gebsrmvn_mxn_16_kernelILj77ELj11ELj7EdEEvi20rocsparse_direction_NS_24const_host_device_scalarIT2_EEPKiS6_PKS3_iiS8_S4_PS3_21rocsparse_index_base_b.uses_vcc, 1
	.set _ZN9rocsparseL22gebsrmvn_mxn_16_kernelILj77ELj11ELj7EdEEvi20rocsparse_direction_NS_24const_host_device_scalarIT2_EEPKiS6_PKS3_iiS8_S4_PS3_21rocsparse_index_base_b.uses_flat_scratch, 0
	.set _ZN9rocsparseL22gebsrmvn_mxn_16_kernelILj77ELj11ELj7EdEEvi20rocsparse_direction_NS_24const_host_device_scalarIT2_EEPKiS6_PKS3_iiS8_S4_PS3_21rocsparse_index_base_b.has_dyn_sized_stack, 0
	.set _ZN9rocsparseL22gebsrmvn_mxn_16_kernelILj77ELj11ELj7EdEEvi20rocsparse_direction_NS_24const_host_device_scalarIT2_EEPKiS6_PKS3_iiS8_S4_PS3_21rocsparse_index_base_b.has_recursion, 0
	.set _ZN9rocsparseL22gebsrmvn_mxn_16_kernelILj77ELj11ELj7EdEEvi20rocsparse_direction_NS_24const_host_device_scalarIT2_EEPKiS6_PKS3_iiS8_S4_PS3_21rocsparse_index_base_b.has_indirect_call, 0
	.section	.AMDGPU.csdata,"",@progbits
; Kernel info:
; codeLenInByte = 1100
; TotalNumSgprs: 22
; NumVgprs: 18
; ScratchSize: 0
; MemoryBound: 0
; FloatMode: 240
; IeeeMode: 1
; LDSByteSize: 616 bytes/workgroup (compile time only)
; SGPRBlocks: 2
; VGPRBlocks: 4
; NumSGPRsForWavesPerEU: 22
; NumVGPRsForWavesPerEU: 18
; Occupancy: 10
; WaveLimiterHint : 1
; COMPUTE_PGM_RSRC2:SCRATCH_EN: 0
; COMPUTE_PGM_RSRC2:USER_SGPR: 6
; COMPUTE_PGM_RSRC2:TRAP_HANDLER: 0
; COMPUTE_PGM_RSRC2:TGID_X_EN: 1
; COMPUTE_PGM_RSRC2:TGID_Y_EN: 0
; COMPUTE_PGM_RSRC2:TGID_Z_EN: 0
; COMPUTE_PGM_RSRC2:TIDIG_COMP_CNT: 0
	.section	.text._ZN9rocsparseL22gebsrmvn_mxn_16_kernelILj88ELj11ELj8EdEEvi20rocsparse_direction_NS_24const_host_device_scalarIT2_EEPKiS6_PKS3_iiS8_S4_PS3_21rocsparse_index_base_b,"axG",@progbits,_ZN9rocsparseL22gebsrmvn_mxn_16_kernelILj88ELj11ELj8EdEEvi20rocsparse_direction_NS_24const_host_device_scalarIT2_EEPKiS6_PKS3_iiS8_S4_PS3_21rocsparse_index_base_b,comdat
	.globl	_ZN9rocsparseL22gebsrmvn_mxn_16_kernelILj88ELj11ELj8EdEEvi20rocsparse_direction_NS_24const_host_device_scalarIT2_EEPKiS6_PKS3_iiS8_S4_PS3_21rocsparse_index_base_b ; -- Begin function _ZN9rocsparseL22gebsrmvn_mxn_16_kernelILj88ELj11ELj8EdEEvi20rocsparse_direction_NS_24const_host_device_scalarIT2_EEPKiS6_PKS3_iiS8_S4_PS3_21rocsparse_index_base_b
	.p2align	8
	.type	_ZN9rocsparseL22gebsrmvn_mxn_16_kernelILj88ELj11ELj8EdEEvi20rocsparse_direction_NS_24const_host_device_scalarIT2_EEPKiS6_PKS3_iiS8_S4_PS3_21rocsparse_index_base_b,@function
_ZN9rocsparseL22gebsrmvn_mxn_16_kernelILj88ELj11ELj8EdEEvi20rocsparse_direction_NS_24const_host_device_scalarIT2_EEPKiS6_PKS3_iiS8_S4_PS3_21rocsparse_index_base_b: ; @_ZN9rocsparseL22gebsrmvn_mxn_16_kernelILj88ELj11ELj8EdEEvi20rocsparse_direction_NS_24const_host_device_scalarIT2_EEPKiS6_PKS3_iiS8_S4_PS3_21rocsparse_index_base_b
; %bb.0:
	s_load_dwordx2 s[10:11], s[4:5], 0x48
	s_load_dwordx2 s[8:9], s[4:5], 0x8
	;; [unrolled: 1-line block ×3, first 2 shown]
	s_waitcnt lgkmcnt(0)
	s_bitcmp1_b32 s11, 0
	s_cselect_b64 s[12:13], -1, 0
	v_mov_b32_e32 v3, s8
	s_xor_b64 s[2:3], s[12:13], -1
	s_and_b64 vcc, exec, s[12:13]
	v_mov_b32_e32 v4, s9
	s_cbranch_vccnz .LBB59_2
; %bb.1:
	v_mov_b32_e32 v1, s8
	v_mov_b32_e32 v2, s9
	flat_load_dwordx2 v[3:4], v[1:2]
.LBB59_2:
	v_mov_b32_e32 v2, s1
	s_andn2_b64 vcc, exec, s[2:3]
	v_mov_b32_e32 v1, s0
	s_cbranch_vccnz .LBB59_4
; %bb.3:
	v_mov_b32_e32 v2, s1
	v_mov_b32_e32 v1, s0
	flat_load_dwordx2 v[1:2], v[1:2]
.LBB59_4:
	s_waitcnt vmcnt(0) lgkmcnt(0)
	v_cmp_neq_f64_e32 vcc, 0, v[3:4]
	v_cmp_neq_f64_e64 s[0:1], 1.0, v[1:2]
	s_or_b64 s[0:1], vcc, s[0:1]
	s_and_saveexec_b64 s[2:3], s[0:1]
	s_cbranch_execz .LBB59_37
; %bb.5:
	s_load_dword s2, s[4:5], 0x4
	s_load_dwordx2 s[0:1], s[4:5], 0x10
	v_and_b32_e32 v11, 7, v0
	v_mov_b32_e32 v12, v11
	s_waitcnt lgkmcnt(0)
	s_cmp_lg_u32 s2, 1
	s_cselect_b64 s[12:13], -1, 0
	s_and_b64 vcc, exec, s[12:13]
	s_cbranch_vccnz .LBB59_7
; %bb.6:
	v_mul_u32_u24_e32 v5, 0x1746, v0
	v_bfe_u32 v12, v5, 16, 3
.LBB59_7:
	s_ashr_i32 s7, s6, 31
	s_lshl_b64 s[2:3], s[6:7], 2
	s_add_u32 s0, s0, s2
	s_addc_u32 s1, s1, s3
	s_load_dwordx2 s[16:17], s[0:1], 0x0
	s_load_dwordx2 s[8:9], s[4:5], 0x40
	v_mov_b32_e32 v5, 0
	v_mov_b32_e32 v6, 0
	s_waitcnt lgkmcnt(0)
	s_cmp_ge_i32 s16, s17
	s_cbranch_scc1 .LBB59_12
; %bb.8:
	s_load_dwordx4 s[0:3], s[4:5], 0x18
	s_load_dwordx2 s[14:15], s[4:5], 0x30
	s_mul_i32 s4, s16, 0x58
	v_add_u32_e32 v5, s4, v0
	s_mul_i32 s4, s10, 0x58
	v_subrev_u32_e32 v7, s4, v5
	v_mov_b32_e32 v5, 0
	s_sub_i32 s7, s17, s10
	s_sub_i32 s11, s16, s10
	v_mul_u32_u24_e32 v13, 0x2e9, v0
	v_mov_b32_e32 v6, 0
	v_mov_b32_e32 v8, 0
	s_branch .LBB59_10
.LBB59_9:                               ;   in Loop: Header=BB59_10 Depth=1
	s_or_b64 exec, exec, s[4:5]
	s_add_i32 s11, s11, 1
	s_cmp_ge_i32 s11, s7
	v_add_u32_e32 v7, 0x58, v7
	s_cbranch_scc1 .LBB59_12
.LBB59_10:                              ; =>This Inner Loop Header: Depth=1
	v_add_u32_sdwa v9, v13, s11 dst_sel:DWORD dst_unused:UNUSED_PAD src0_sel:WORD_1 src1_sel:DWORD
	v_cmp_gt_i32_e32 vcc, s7, v9
	s_and_saveexec_b64 s[4:5], vcc
	s_cbranch_execz .LBB59_9
; %bb.11:                               ;   in Loop: Header=BB59_10 Depth=1
	v_ashrrev_i32_e32 v10, 31, v9
	v_lshlrev_b64 v[9:10], 2, v[9:10]
	s_waitcnt lgkmcnt(0)
	v_mov_b32_e32 v14, s1
	v_add_co_u32_e32 v9, vcc, s0, v9
	v_addc_co_u32_e32 v10, vcc, v14, v10, vcc
	global_load_dword v14, v[9:10], off
	v_lshlrev_b64 v[9:10], 3, v[7:8]
	v_mov_b32_e32 v15, s3
	v_add_co_u32_e32 v9, vcc, s2, v9
	v_addc_co_u32_e32 v10, vcc, v15, v10, vcc
	v_mov_b32_e32 v16, s15
	global_load_dwordx2 v[9:10], v[9:10], off
	s_waitcnt vmcnt(1)
	v_subrev_u32_e32 v14, s10, v14
	v_lshl_or_b32 v14, v14, 3, v12
	v_ashrrev_i32_e32 v15, 31, v14
	v_lshlrev_b64 v[14:15], 3, v[14:15]
	v_add_co_u32_e32 v14, vcc, s14, v14
	v_addc_co_u32_e32 v15, vcc, v16, v15, vcc
	global_load_dwordx2 v[14:15], v[14:15], off
	s_waitcnt vmcnt(0)
	v_fma_f64 v[5:6], v[9:10], v[14:15], v[5:6]
	s_branch .LBB59_9
.LBB59_12:
	v_lshlrev_b32_e32 v9, 3, v0
	s_and_b64 vcc, exec, s[12:13]
	ds_write_b64 v9, v[5:6]
	s_waitcnt lgkmcnt(0)
	s_barrier
	s_cbranch_vccz .LBB59_22
; %bb.13:
	v_cmp_gt_u32_e32 vcc, 4, v11
	s_and_saveexec_b64 s[0:1], vcc
	s_cbranch_execz .LBB59_15
; %bb.14:
	ds_read2_b64 v[12:15], v9 offset1:4
	s_waitcnt lgkmcnt(0)
	v_add_f64 v[7:8], v[14:15], v[12:13]
	ds_write_b64 v9, v[7:8]
.LBB59_15:
	s_or_b64 exec, exec, s[0:1]
	v_cmp_gt_u32_e32 vcc, 2, v11
	s_waitcnt lgkmcnt(0)
	s_barrier
	s_and_saveexec_b64 s[0:1], vcc
	s_cbranch_execz .LBB59_17
; %bb.16:
	ds_read2_b64 v[12:15], v9 offset1:2
	s_waitcnt lgkmcnt(0)
	v_add_f64 v[7:8], v[14:15], v[12:13]
	ds_write_b64 v9, v[7:8]
.LBB59_17:
	s_or_b64 exec, exec, s[0:1]
	v_cmp_eq_u32_e32 vcc, 0, v11
	s_waitcnt lgkmcnt(0)
	s_barrier
	s_and_saveexec_b64 s[0:1], vcc
	s_cbranch_execz .LBB59_19
; %bb.18:
	ds_read2_b64 v[10:13], v9 offset1:1
	s_waitcnt lgkmcnt(0)
	v_add_f64 v[7:8], v[12:13], v[10:11]
	ds_write_b64 v9, v[7:8]
.LBB59_19:
	s_or_b64 exec, exec, s[0:1]
	v_mov_b32_e32 v8, v6
	v_cmp_gt_u32_e32 vcc, 11, v0
	v_mov_b32_e32 v7, v5
	s_waitcnt lgkmcnt(0)
	s_barrier
	s_and_saveexec_b64 s[0:1], vcc
; %bb.20:
	v_mad_u32_u24 v7, v0, 56, v9
	ds_read_b64 v[7:8], v7
; %bb.21:
	s_or_b64 exec, exec, s[0:1]
	s_branch .LBB59_32
.LBB59_22:
                                        ; implicit-def: $vgpr7_vgpr8
	s_cbranch_execz .LBB59_32
; %bb.23:
	v_cmp_gt_u32_e32 vcc, 44, v0
	s_and_saveexec_b64 s[0:1], vcc
	s_cbranch_execz .LBB59_25
; %bb.24:
	ds_read2_b64 v[10:13], v9 offset1:44
	s_waitcnt lgkmcnt(0)
	v_add_f64 v[7:8], v[12:13], v[10:11]
	ds_write_b64 v9, v[7:8]
.LBB59_25:
	s_or_b64 exec, exec, s[0:1]
	v_cmp_gt_u32_e32 vcc, 22, v0
	s_waitcnt lgkmcnt(0)
	s_barrier
	s_and_saveexec_b64 s[0:1], vcc
	s_cbranch_execz .LBB59_27
; %bb.26:
	ds_read2_b64 v[10:13], v9 offset1:22
	s_waitcnt lgkmcnt(0)
	v_add_f64 v[7:8], v[12:13], v[10:11]
	ds_write_b64 v9, v[7:8]
.LBB59_27:
	s_or_b64 exec, exec, s[0:1]
	v_cmp_lt_u32_e32 vcc, 10, v0
	s_waitcnt lgkmcnt(0)
	s_and_saveexec_b64 s[0:1], vcc
	s_xor_b64 s[0:1], exec, s[0:1]
; %bb.28:
                                        ; implicit-def: $vgpr9
; %bb.29:
	s_andn2_saveexec_b64 s[0:1], s[0:1]
	s_cbranch_execz .LBB59_31
; %bb.30:
	ds_read2_b64 v[5:8], v9 offset1:11
	s_waitcnt lgkmcnt(0)
	v_add_f64 v[5:6], v[7:8], v[5:6]
	ds_write_b64 v9, v[5:6]
	s_waitcnt lgkmcnt(0)
	ds_read_b64 v[5:6], v9
.LBB59_31:
	s_or_b64 exec, exec, s[0:1]
	s_waitcnt lgkmcnt(0)
	v_mov_b32_e32 v8, v6
	v_mov_b32_e32 v7, v5
.LBB59_32:
	v_cmp_gt_u32_e32 vcc, 11, v0
	s_and_b64 exec, exec, vcc
	s_cbranch_execz .LBB59_37
; %bb.33:
	v_cmp_eq_f64_e32 vcc, 0, v[1:2]
	s_waitcnt lgkmcnt(0)
	v_mul_f64 v[3:4], v[3:4], v[7:8]
	s_and_saveexec_b64 s[0:1], vcc
	s_xor_b64 s[0:1], exec, s[0:1]
	s_cbranch_execz .LBB59_35
; %bb.34:
	v_mad_u64_u32 v[0:1], s[2:3], s6, 11, v[0:1]
	v_mov_b32_e32 v1, 0
	v_mov_b32_e32 v2, s9
	v_lshlrev_b64 v[0:1], 3, v[0:1]
	v_add_co_u32_e32 v0, vcc, s8, v0
	v_addc_co_u32_e32 v1, vcc, v2, v1, vcc
	global_store_dwordx2 v[0:1], v[3:4], off
                                        ; implicit-def: $vgpr0
                                        ; implicit-def: $vgpr1_vgpr2
                                        ; implicit-def: $vgpr3_vgpr4
.LBB59_35:
	s_andn2_saveexec_b64 s[0:1], s[0:1]
	s_cbranch_execz .LBB59_37
; %bb.36:
	v_mad_u64_u32 v[5:6], s[0:1], s6, 11, v[0:1]
	v_mov_b32_e32 v6, 0
	v_mov_b32_e32 v0, s9
	v_lshlrev_b64 v[5:6], 3, v[5:6]
	v_add_co_u32_e32 v5, vcc, s8, v5
	v_addc_co_u32_e32 v6, vcc, v0, v6, vcc
	global_load_dwordx2 v[7:8], v[5:6], off
	s_waitcnt vmcnt(0)
	v_fma_f64 v[0:1], v[1:2], v[7:8], v[3:4]
	global_store_dwordx2 v[5:6], v[0:1], off
.LBB59_37:
	s_endpgm
	.section	.rodata,"a",@progbits
	.p2align	6, 0x0
	.amdhsa_kernel _ZN9rocsparseL22gebsrmvn_mxn_16_kernelILj88ELj11ELj8EdEEvi20rocsparse_direction_NS_24const_host_device_scalarIT2_EEPKiS6_PKS3_iiS8_S4_PS3_21rocsparse_index_base_b
		.amdhsa_group_segment_fixed_size 704
		.amdhsa_private_segment_fixed_size 0
		.amdhsa_kernarg_size 80
		.amdhsa_user_sgpr_count 6
		.amdhsa_user_sgpr_private_segment_buffer 1
		.amdhsa_user_sgpr_dispatch_ptr 0
		.amdhsa_user_sgpr_queue_ptr 0
		.amdhsa_user_sgpr_kernarg_segment_ptr 1
		.amdhsa_user_sgpr_dispatch_id 0
		.amdhsa_user_sgpr_flat_scratch_init 0
		.amdhsa_user_sgpr_private_segment_size 0
		.amdhsa_uses_dynamic_stack 0
		.amdhsa_system_sgpr_private_segment_wavefront_offset 0
		.amdhsa_system_sgpr_workgroup_id_x 1
		.amdhsa_system_sgpr_workgroup_id_y 0
		.amdhsa_system_sgpr_workgroup_id_z 0
		.amdhsa_system_sgpr_workgroup_info 0
		.amdhsa_system_vgpr_workitem_id 0
		.amdhsa_next_free_vgpr 17
		.amdhsa_next_free_sgpr 18
		.amdhsa_reserve_vcc 1
		.amdhsa_reserve_flat_scratch 0
		.amdhsa_float_round_mode_32 0
		.amdhsa_float_round_mode_16_64 0
		.amdhsa_float_denorm_mode_32 3
		.amdhsa_float_denorm_mode_16_64 3
		.amdhsa_dx10_clamp 1
		.amdhsa_ieee_mode 1
		.amdhsa_fp16_overflow 0
		.amdhsa_exception_fp_ieee_invalid_op 0
		.amdhsa_exception_fp_denorm_src 0
		.amdhsa_exception_fp_ieee_div_zero 0
		.amdhsa_exception_fp_ieee_overflow 0
		.amdhsa_exception_fp_ieee_underflow 0
		.amdhsa_exception_fp_ieee_inexact 0
		.amdhsa_exception_int_div_zero 0
	.end_amdhsa_kernel
	.section	.text._ZN9rocsparseL22gebsrmvn_mxn_16_kernelILj88ELj11ELj8EdEEvi20rocsparse_direction_NS_24const_host_device_scalarIT2_EEPKiS6_PKS3_iiS8_S4_PS3_21rocsparse_index_base_b,"axG",@progbits,_ZN9rocsparseL22gebsrmvn_mxn_16_kernelILj88ELj11ELj8EdEEvi20rocsparse_direction_NS_24const_host_device_scalarIT2_EEPKiS6_PKS3_iiS8_S4_PS3_21rocsparse_index_base_b,comdat
.Lfunc_end59:
	.size	_ZN9rocsparseL22gebsrmvn_mxn_16_kernelILj88ELj11ELj8EdEEvi20rocsparse_direction_NS_24const_host_device_scalarIT2_EEPKiS6_PKS3_iiS8_S4_PS3_21rocsparse_index_base_b, .Lfunc_end59-_ZN9rocsparseL22gebsrmvn_mxn_16_kernelILj88ELj11ELj8EdEEvi20rocsparse_direction_NS_24const_host_device_scalarIT2_EEPKiS6_PKS3_iiS8_S4_PS3_21rocsparse_index_base_b
                                        ; -- End function
	.set _ZN9rocsparseL22gebsrmvn_mxn_16_kernelILj88ELj11ELj8EdEEvi20rocsparse_direction_NS_24const_host_device_scalarIT2_EEPKiS6_PKS3_iiS8_S4_PS3_21rocsparse_index_base_b.num_vgpr, 17
	.set _ZN9rocsparseL22gebsrmvn_mxn_16_kernelILj88ELj11ELj8EdEEvi20rocsparse_direction_NS_24const_host_device_scalarIT2_EEPKiS6_PKS3_iiS8_S4_PS3_21rocsparse_index_base_b.num_agpr, 0
	.set _ZN9rocsparseL22gebsrmvn_mxn_16_kernelILj88ELj11ELj8EdEEvi20rocsparse_direction_NS_24const_host_device_scalarIT2_EEPKiS6_PKS3_iiS8_S4_PS3_21rocsparse_index_base_b.numbered_sgpr, 18
	.set _ZN9rocsparseL22gebsrmvn_mxn_16_kernelILj88ELj11ELj8EdEEvi20rocsparse_direction_NS_24const_host_device_scalarIT2_EEPKiS6_PKS3_iiS8_S4_PS3_21rocsparse_index_base_b.num_named_barrier, 0
	.set _ZN9rocsparseL22gebsrmvn_mxn_16_kernelILj88ELj11ELj8EdEEvi20rocsparse_direction_NS_24const_host_device_scalarIT2_EEPKiS6_PKS3_iiS8_S4_PS3_21rocsparse_index_base_b.private_seg_size, 0
	.set _ZN9rocsparseL22gebsrmvn_mxn_16_kernelILj88ELj11ELj8EdEEvi20rocsparse_direction_NS_24const_host_device_scalarIT2_EEPKiS6_PKS3_iiS8_S4_PS3_21rocsparse_index_base_b.uses_vcc, 1
	.set _ZN9rocsparseL22gebsrmvn_mxn_16_kernelILj88ELj11ELj8EdEEvi20rocsparse_direction_NS_24const_host_device_scalarIT2_EEPKiS6_PKS3_iiS8_S4_PS3_21rocsparse_index_base_b.uses_flat_scratch, 0
	.set _ZN9rocsparseL22gebsrmvn_mxn_16_kernelILj88ELj11ELj8EdEEvi20rocsparse_direction_NS_24const_host_device_scalarIT2_EEPKiS6_PKS3_iiS8_S4_PS3_21rocsparse_index_base_b.has_dyn_sized_stack, 0
	.set _ZN9rocsparseL22gebsrmvn_mxn_16_kernelILj88ELj11ELj8EdEEvi20rocsparse_direction_NS_24const_host_device_scalarIT2_EEPKiS6_PKS3_iiS8_S4_PS3_21rocsparse_index_base_b.has_recursion, 0
	.set _ZN9rocsparseL22gebsrmvn_mxn_16_kernelILj88ELj11ELj8EdEEvi20rocsparse_direction_NS_24const_host_device_scalarIT2_EEPKiS6_PKS3_iiS8_S4_PS3_21rocsparse_index_base_b.has_indirect_call, 0
	.section	.AMDGPU.csdata,"",@progbits
; Kernel info:
; codeLenInByte = 1044
; TotalNumSgprs: 22
; NumVgprs: 17
; ScratchSize: 0
; MemoryBound: 0
; FloatMode: 240
; IeeeMode: 1
; LDSByteSize: 704 bytes/workgroup (compile time only)
; SGPRBlocks: 2
; VGPRBlocks: 4
; NumSGPRsForWavesPerEU: 22
; NumVGPRsForWavesPerEU: 17
; Occupancy: 10
; WaveLimiterHint : 1
; COMPUTE_PGM_RSRC2:SCRATCH_EN: 0
; COMPUTE_PGM_RSRC2:USER_SGPR: 6
; COMPUTE_PGM_RSRC2:TRAP_HANDLER: 0
; COMPUTE_PGM_RSRC2:TGID_X_EN: 1
; COMPUTE_PGM_RSRC2:TGID_Y_EN: 0
; COMPUTE_PGM_RSRC2:TGID_Z_EN: 0
; COMPUTE_PGM_RSRC2:TIDIG_COMP_CNT: 0
	.section	.text._ZN9rocsparseL22gebsrmvn_mxn_16_kernelILj60ELj12ELj1EdEEvi20rocsparse_direction_NS_24const_host_device_scalarIT2_EEPKiS6_PKS3_iiS8_S4_PS3_21rocsparse_index_base_b,"axG",@progbits,_ZN9rocsparseL22gebsrmvn_mxn_16_kernelILj60ELj12ELj1EdEEvi20rocsparse_direction_NS_24const_host_device_scalarIT2_EEPKiS6_PKS3_iiS8_S4_PS3_21rocsparse_index_base_b,comdat
	.globl	_ZN9rocsparseL22gebsrmvn_mxn_16_kernelILj60ELj12ELj1EdEEvi20rocsparse_direction_NS_24const_host_device_scalarIT2_EEPKiS6_PKS3_iiS8_S4_PS3_21rocsparse_index_base_b ; -- Begin function _ZN9rocsparseL22gebsrmvn_mxn_16_kernelILj60ELj12ELj1EdEEvi20rocsparse_direction_NS_24const_host_device_scalarIT2_EEPKiS6_PKS3_iiS8_S4_PS3_21rocsparse_index_base_b
	.p2align	8
	.type	_ZN9rocsparseL22gebsrmvn_mxn_16_kernelILj60ELj12ELj1EdEEvi20rocsparse_direction_NS_24const_host_device_scalarIT2_EEPKiS6_PKS3_iiS8_S4_PS3_21rocsparse_index_base_b,@function
_ZN9rocsparseL22gebsrmvn_mxn_16_kernelILj60ELj12ELj1EdEEvi20rocsparse_direction_NS_24const_host_device_scalarIT2_EEPKiS6_PKS3_iiS8_S4_PS3_21rocsparse_index_base_b: ; @_ZN9rocsparseL22gebsrmvn_mxn_16_kernelILj60ELj12ELj1EdEEvi20rocsparse_direction_NS_24const_host_device_scalarIT2_EEPKiS6_PKS3_iiS8_S4_PS3_21rocsparse_index_base_b
; %bb.0:
	s_load_dwordx2 s[10:11], s[4:5], 0x48
	s_load_dwordx2 s[8:9], s[4:5], 0x8
	;; [unrolled: 1-line block ×3, first 2 shown]
	s_waitcnt lgkmcnt(0)
	s_bitcmp1_b32 s11, 0
	s_cselect_b64 s[12:13], -1, 0
	v_mov_b32_e32 v3, s8
	s_xor_b64 s[2:3], s[12:13], -1
	s_and_b64 vcc, exec, s[12:13]
	v_mov_b32_e32 v4, s9
	s_cbranch_vccnz .LBB60_2
; %bb.1:
	v_mov_b32_e32 v1, s8
	v_mov_b32_e32 v2, s9
	flat_load_dwordx2 v[3:4], v[1:2]
.LBB60_2:
	v_mov_b32_e32 v2, s1
	s_andn2_b64 vcc, exec, s[2:3]
	v_mov_b32_e32 v1, s0
	s_cbranch_vccnz .LBB60_4
; %bb.3:
	v_mov_b32_e32 v2, s1
	v_mov_b32_e32 v1, s0
	flat_load_dwordx2 v[1:2], v[1:2]
.LBB60_4:
	s_waitcnt vmcnt(0) lgkmcnt(0)
	v_cmp_neq_f64_e32 vcc, 0, v[3:4]
	v_cmp_neq_f64_e64 s[0:1], 1.0, v[1:2]
	s_or_b64 s[0:1], vcc, s[0:1]
	s_and_saveexec_b64 s[2:3], s[0:1]
	s_cbranch_execz .LBB60_24
; %bb.5:
	s_load_dwordx2 s[0:1], s[4:5], 0x10
	s_ashr_i32 s7, s6, 31
	s_lshl_b64 s[2:3], s[6:7], 2
	s_waitcnt lgkmcnt(0)
	s_add_u32 s0, s0, s2
	s_addc_u32 s1, s1, s3
	s_load_dwordx2 s[14:15], s[0:1], 0x0
	s_waitcnt lgkmcnt(0)
	s_cmp_lt_i32 s14, s15
	s_cbranch_scc1 .LBB60_7
; %bb.6:
	s_mov_b64 s[0:1], 0
	s_branch .LBB60_8
.LBB60_7:
	s_mov_b64 s[0:1], -1
.LBB60_8:
	s_load_dwordx2 s[8:9], s[4:5], 0x40
	v_mov_b32_e32 v5, 0
	v_mov_b32_e32 v6, 0
	s_andn2_b64 vcc, exec, s[0:1]
	s_cbranch_vccnz .LBB60_13
; %bb.9:
	s_load_dwordx4 s[0:3], s[4:5], 0x18
	s_load_dwordx2 s[12:13], s[4:5], 0x30
	v_mad_u64_u32 v[5:6], s[4:5], s14, 12, v[0:1]
	s_mul_i32 s4, s10, 12
	s_sub_i32 s7, s15, s10
	v_subrev_u32_e32 v7, s4, v5
	v_mov_b32_e32 v5, 0
	s_sub_i32 s11, s14, s10
	v_mul_u32_u24_e32 v11, 0x1556, v0
	v_mov_b32_e32 v6, 0
	v_mov_b32_e32 v8, 0
	s_branch .LBB60_11
.LBB60_10:                              ;   in Loop: Header=BB60_11 Depth=1
	s_or_b64 exec, exec, s[4:5]
	s_add_i32 s11, s11, 5
	s_cmp_ge_i32 s11, s7
	v_add_u32_e32 v7, 60, v7
	s_cbranch_scc1 .LBB60_13
.LBB60_11:                              ; =>This Inner Loop Header: Depth=1
	v_add_u32_sdwa v9, v11, s11 dst_sel:DWORD dst_unused:UNUSED_PAD src0_sel:WORD_1 src1_sel:DWORD
	v_cmp_gt_i32_e32 vcc, s7, v9
	s_and_saveexec_b64 s[4:5], vcc
	s_cbranch_execz .LBB60_10
; %bb.12:                               ;   in Loop: Header=BB60_11 Depth=1
	v_ashrrev_i32_e32 v10, 31, v9
	v_lshlrev_b64 v[9:10], 2, v[9:10]
	s_waitcnt lgkmcnt(0)
	v_mov_b32_e32 v12, s1
	v_add_co_u32_e32 v9, vcc, s0, v9
	v_addc_co_u32_e32 v10, vcc, v12, v10, vcc
	global_load_dword v12, v[9:10], off
	v_lshlrev_b64 v[9:10], 3, v[7:8]
	v_mov_b32_e32 v13, s3
	v_add_co_u32_e32 v9, vcc, s2, v9
	v_addc_co_u32_e32 v10, vcc, v13, v10, vcc
	v_mov_b32_e32 v14, s13
	global_load_dwordx2 v[9:10], v[9:10], off
	s_waitcnt vmcnt(1)
	v_subrev_u32_e32 v12, s10, v12
	v_ashrrev_i32_e32 v13, 31, v12
	v_lshlrev_b64 v[12:13], 3, v[12:13]
	v_add_co_u32_e32 v12, vcc, s12, v12
	v_addc_co_u32_e32 v13, vcc, v14, v13, vcc
	global_load_dwordx2 v[12:13], v[12:13], off
	s_waitcnt vmcnt(0)
	v_fma_f64 v[5:6], v[9:10], v[12:13], v[5:6]
	s_branch .LBB60_10
.LBB60_13:
	v_lshlrev_b32_e32 v7, 3, v0
	v_cmp_gt_u32_e32 vcc, 12, v0
	ds_write_b64 v7, v[5:6]
	s_waitcnt lgkmcnt(0)
	; wave barrier
	s_and_saveexec_b64 s[0:1], vcc
	s_cbranch_execz .LBB60_15
; %bb.14:
	ds_read2_b64 v[8:11], v7 offset1:48
	s_waitcnt lgkmcnt(0)
	v_add_f64 v[5:6], v[10:11], v[8:9]
	ds_write_b64 v7, v[5:6]
.LBB60_15:
	s_or_b64 exec, exec, s[0:1]
	v_cmp_gt_u32_e64 s[0:1], 24, v0
	s_waitcnt lgkmcnt(0)
	; wave barrier
	s_and_saveexec_b64 s[2:3], s[0:1]
	s_cbranch_execz .LBB60_17
; %bb.16:
	ds_read2_b64 v[8:11], v7 offset1:24
	s_waitcnt lgkmcnt(0)
	v_add_f64 v[5:6], v[10:11], v[8:9]
	ds_write_b64 v7, v[5:6]
.LBB60_17:
	s_or_b64 exec, exec, s[2:3]
	s_waitcnt lgkmcnt(0)
	; wave barrier
	s_and_saveexec_b64 s[0:1], vcc
	s_cbranch_execz .LBB60_19
; %bb.18:
	ds_read2_b64 v[8:11], v7 offset1:12
	s_waitcnt lgkmcnt(0)
	v_add_f64 v[5:6], v[10:11], v[8:9]
	ds_write_b64 v7, v[5:6]
.LBB60_19:
	s_or_b64 exec, exec, s[0:1]
	s_waitcnt lgkmcnt(0)
	; wave barrier
	s_and_b64 exec, exec, vcc
	s_cbranch_execz .LBB60_24
; %bb.20:
	ds_read_b64 v[5:6], v7
	v_cmp_eq_f64_e32 vcc, 0, v[1:2]
	s_waitcnt lgkmcnt(0)
	v_mul_f64 v[3:4], v[3:4], v[5:6]
	s_and_saveexec_b64 s[0:1], vcc
	s_xor_b64 s[0:1], exec, s[0:1]
	s_cbranch_execz .LBB60_22
; %bb.21:
	v_mad_u64_u32 v[0:1], s[2:3], s6, 12, v[0:1]
	v_mov_b32_e32 v1, 0
	v_mov_b32_e32 v2, s9
	v_lshlrev_b64 v[0:1], 3, v[0:1]
	v_add_co_u32_e32 v0, vcc, s8, v0
	v_addc_co_u32_e32 v1, vcc, v2, v1, vcc
	global_store_dwordx2 v[0:1], v[3:4], off
                                        ; implicit-def: $vgpr0
                                        ; implicit-def: $vgpr1_vgpr2
                                        ; implicit-def: $vgpr3_vgpr4
.LBB60_22:
	s_andn2_saveexec_b64 s[0:1], s[0:1]
	s_cbranch_execz .LBB60_24
; %bb.23:
	v_mad_u64_u32 v[5:6], s[0:1], s6, 12, v[0:1]
	v_mov_b32_e32 v6, 0
	v_mov_b32_e32 v0, s9
	v_lshlrev_b64 v[5:6], 3, v[5:6]
	v_add_co_u32_e32 v5, vcc, s8, v5
	v_addc_co_u32_e32 v6, vcc, v0, v6, vcc
	global_load_dwordx2 v[7:8], v[5:6], off
	s_waitcnt vmcnt(0)
	v_fma_f64 v[0:1], v[1:2], v[7:8], v[3:4]
	global_store_dwordx2 v[5:6], v[0:1], off
.LBB60_24:
	s_endpgm
	.section	.rodata,"a",@progbits
	.p2align	6, 0x0
	.amdhsa_kernel _ZN9rocsparseL22gebsrmvn_mxn_16_kernelILj60ELj12ELj1EdEEvi20rocsparse_direction_NS_24const_host_device_scalarIT2_EEPKiS6_PKS3_iiS8_S4_PS3_21rocsparse_index_base_b
		.amdhsa_group_segment_fixed_size 480
		.amdhsa_private_segment_fixed_size 0
		.amdhsa_kernarg_size 80
		.amdhsa_user_sgpr_count 6
		.amdhsa_user_sgpr_private_segment_buffer 1
		.amdhsa_user_sgpr_dispatch_ptr 0
		.amdhsa_user_sgpr_queue_ptr 0
		.amdhsa_user_sgpr_kernarg_segment_ptr 1
		.amdhsa_user_sgpr_dispatch_id 0
		.amdhsa_user_sgpr_flat_scratch_init 0
		.amdhsa_user_sgpr_private_segment_size 0
		.amdhsa_uses_dynamic_stack 0
		.amdhsa_system_sgpr_private_segment_wavefront_offset 0
		.amdhsa_system_sgpr_workgroup_id_x 1
		.amdhsa_system_sgpr_workgroup_id_y 0
		.amdhsa_system_sgpr_workgroup_id_z 0
		.amdhsa_system_sgpr_workgroup_info 0
		.amdhsa_system_vgpr_workitem_id 0
		.amdhsa_next_free_vgpr 15
		.amdhsa_next_free_sgpr 16
		.amdhsa_reserve_vcc 1
		.amdhsa_reserve_flat_scratch 0
		.amdhsa_float_round_mode_32 0
		.amdhsa_float_round_mode_16_64 0
		.amdhsa_float_denorm_mode_32 3
		.amdhsa_float_denorm_mode_16_64 3
		.amdhsa_dx10_clamp 1
		.amdhsa_ieee_mode 1
		.amdhsa_fp16_overflow 0
		.amdhsa_exception_fp_ieee_invalid_op 0
		.amdhsa_exception_fp_denorm_src 0
		.amdhsa_exception_fp_ieee_div_zero 0
		.amdhsa_exception_fp_ieee_overflow 0
		.amdhsa_exception_fp_ieee_underflow 0
		.amdhsa_exception_fp_ieee_inexact 0
		.amdhsa_exception_int_div_zero 0
	.end_amdhsa_kernel
	.section	.text._ZN9rocsparseL22gebsrmvn_mxn_16_kernelILj60ELj12ELj1EdEEvi20rocsparse_direction_NS_24const_host_device_scalarIT2_EEPKiS6_PKS3_iiS8_S4_PS3_21rocsparse_index_base_b,"axG",@progbits,_ZN9rocsparseL22gebsrmvn_mxn_16_kernelILj60ELj12ELj1EdEEvi20rocsparse_direction_NS_24const_host_device_scalarIT2_EEPKiS6_PKS3_iiS8_S4_PS3_21rocsparse_index_base_b,comdat
.Lfunc_end60:
	.size	_ZN9rocsparseL22gebsrmvn_mxn_16_kernelILj60ELj12ELj1EdEEvi20rocsparse_direction_NS_24const_host_device_scalarIT2_EEPKiS6_PKS3_iiS8_S4_PS3_21rocsparse_index_base_b, .Lfunc_end60-_ZN9rocsparseL22gebsrmvn_mxn_16_kernelILj60ELj12ELj1EdEEvi20rocsparse_direction_NS_24const_host_device_scalarIT2_EEPKiS6_PKS3_iiS8_S4_PS3_21rocsparse_index_base_b
                                        ; -- End function
	.set _ZN9rocsparseL22gebsrmvn_mxn_16_kernelILj60ELj12ELj1EdEEvi20rocsparse_direction_NS_24const_host_device_scalarIT2_EEPKiS6_PKS3_iiS8_S4_PS3_21rocsparse_index_base_b.num_vgpr, 15
	.set _ZN9rocsparseL22gebsrmvn_mxn_16_kernelILj60ELj12ELj1EdEEvi20rocsparse_direction_NS_24const_host_device_scalarIT2_EEPKiS6_PKS3_iiS8_S4_PS3_21rocsparse_index_base_b.num_agpr, 0
	.set _ZN9rocsparseL22gebsrmvn_mxn_16_kernelILj60ELj12ELj1EdEEvi20rocsparse_direction_NS_24const_host_device_scalarIT2_EEPKiS6_PKS3_iiS8_S4_PS3_21rocsparse_index_base_b.numbered_sgpr, 16
	.set _ZN9rocsparseL22gebsrmvn_mxn_16_kernelILj60ELj12ELj1EdEEvi20rocsparse_direction_NS_24const_host_device_scalarIT2_EEPKiS6_PKS3_iiS8_S4_PS3_21rocsparse_index_base_b.num_named_barrier, 0
	.set _ZN9rocsparseL22gebsrmvn_mxn_16_kernelILj60ELj12ELj1EdEEvi20rocsparse_direction_NS_24const_host_device_scalarIT2_EEPKiS6_PKS3_iiS8_S4_PS3_21rocsparse_index_base_b.private_seg_size, 0
	.set _ZN9rocsparseL22gebsrmvn_mxn_16_kernelILj60ELj12ELj1EdEEvi20rocsparse_direction_NS_24const_host_device_scalarIT2_EEPKiS6_PKS3_iiS8_S4_PS3_21rocsparse_index_base_b.uses_vcc, 1
	.set _ZN9rocsparseL22gebsrmvn_mxn_16_kernelILj60ELj12ELj1EdEEvi20rocsparse_direction_NS_24const_host_device_scalarIT2_EEPKiS6_PKS3_iiS8_S4_PS3_21rocsparse_index_base_b.uses_flat_scratch, 0
	.set _ZN9rocsparseL22gebsrmvn_mxn_16_kernelILj60ELj12ELj1EdEEvi20rocsparse_direction_NS_24const_host_device_scalarIT2_EEPKiS6_PKS3_iiS8_S4_PS3_21rocsparse_index_base_b.has_dyn_sized_stack, 0
	.set _ZN9rocsparseL22gebsrmvn_mxn_16_kernelILj60ELj12ELj1EdEEvi20rocsparse_direction_NS_24const_host_device_scalarIT2_EEPKiS6_PKS3_iiS8_S4_PS3_21rocsparse_index_base_b.has_recursion, 0
	.set _ZN9rocsparseL22gebsrmvn_mxn_16_kernelILj60ELj12ELj1EdEEvi20rocsparse_direction_NS_24const_host_device_scalarIT2_EEPKiS6_PKS3_iiS8_S4_PS3_21rocsparse_index_base_b.has_indirect_call, 0
	.section	.AMDGPU.csdata,"",@progbits
; Kernel info:
; codeLenInByte = 756
; TotalNumSgprs: 20
; NumVgprs: 15
; ScratchSize: 0
; MemoryBound: 0
; FloatMode: 240
; IeeeMode: 1
; LDSByteSize: 480 bytes/workgroup (compile time only)
; SGPRBlocks: 2
; VGPRBlocks: 3
; NumSGPRsForWavesPerEU: 20
; NumVGPRsForWavesPerEU: 15
; Occupancy: 10
; WaveLimiterHint : 1
; COMPUTE_PGM_RSRC2:SCRATCH_EN: 0
; COMPUTE_PGM_RSRC2:USER_SGPR: 6
; COMPUTE_PGM_RSRC2:TRAP_HANDLER: 0
; COMPUTE_PGM_RSRC2:TGID_X_EN: 1
; COMPUTE_PGM_RSRC2:TGID_Y_EN: 0
; COMPUTE_PGM_RSRC2:TGID_Z_EN: 0
; COMPUTE_PGM_RSRC2:TIDIG_COMP_CNT: 0
	.section	.text._ZN9rocsparseL22gebsrmvn_mxn_16_kernelILj48ELj12ELj2EdEEvi20rocsparse_direction_NS_24const_host_device_scalarIT2_EEPKiS6_PKS3_iiS8_S4_PS3_21rocsparse_index_base_b,"axG",@progbits,_ZN9rocsparseL22gebsrmvn_mxn_16_kernelILj48ELj12ELj2EdEEvi20rocsparse_direction_NS_24const_host_device_scalarIT2_EEPKiS6_PKS3_iiS8_S4_PS3_21rocsparse_index_base_b,comdat
	.globl	_ZN9rocsparseL22gebsrmvn_mxn_16_kernelILj48ELj12ELj2EdEEvi20rocsparse_direction_NS_24const_host_device_scalarIT2_EEPKiS6_PKS3_iiS8_S4_PS3_21rocsparse_index_base_b ; -- Begin function _ZN9rocsparseL22gebsrmvn_mxn_16_kernelILj48ELj12ELj2EdEEvi20rocsparse_direction_NS_24const_host_device_scalarIT2_EEPKiS6_PKS3_iiS8_S4_PS3_21rocsparse_index_base_b
	.p2align	8
	.type	_ZN9rocsparseL22gebsrmvn_mxn_16_kernelILj48ELj12ELj2EdEEvi20rocsparse_direction_NS_24const_host_device_scalarIT2_EEPKiS6_PKS3_iiS8_S4_PS3_21rocsparse_index_base_b,@function
_ZN9rocsparseL22gebsrmvn_mxn_16_kernelILj48ELj12ELj2EdEEvi20rocsparse_direction_NS_24const_host_device_scalarIT2_EEPKiS6_PKS3_iiS8_S4_PS3_21rocsparse_index_base_b: ; @_ZN9rocsparseL22gebsrmvn_mxn_16_kernelILj48ELj12ELj2EdEEvi20rocsparse_direction_NS_24const_host_device_scalarIT2_EEPKiS6_PKS3_iiS8_S4_PS3_21rocsparse_index_base_b
; %bb.0:
	s_load_dwordx2 s[10:11], s[4:5], 0x48
	s_load_dwordx2 s[8:9], s[4:5], 0x8
	s_load_dwordx2 s[0:1], s[4:5], 0x38
	s_waitcnt lgkmcnt(0)
	s_bitcmp1_b32 s11, 0
	s_cselect_b64 s[12:13], -1, 0
	v_mov_b32_e32 v3, s8
	s_xor_b64 s[2:3], s[12:13], -1
	s_and_b64 vcc, exec, s[12:13]
	v_mov_b32_e32 v4, s9
	s_cbranch_vccnz .LBB61_2
; %bb.1:
	v_mov_b32_e32 v1, s8
	v_mov_b32_e32 v2, s9
	flat_load_dwordx2 v[3:4], v[1:2]
.LBB61_2:
	v_mov_b32_e32 v2, s1
	s_andn2_b64 vcc, exec, s[2:3]
	v_mov_b32_e32 v1, s0
	s_cbranch_vccnz .LBB61_4
; %bb.3:
	v_mov_b32_e32 v2, s1
	v_mov_b32_e32 v1, s0
	flat_load_dwordx2 v[1:2], v[1:2]
.LBB61_4:
	s_waitcnt vmcnt(0) lgkmcnt(0)
	v_cmp_neq_f64_e32 vcc, 0, v[3:4]
	v_cmp_neq_f64_e64 s[0:1], 1.0, v[1:2]
	s_or_b64 s[0:1], vcc, s[0:1]
	s_and_saveexec_b64 s[2:3], s[0:1]
	s_cbranch_execz .LBB61_31
; %bb.5:
	s_load_dword s2, s[4:5], 0x4
	s_load_dwordx2 s[0:1], s[4:5], 0x10
	v_and_b32_e32 v11, 1, v0
	v_mov_b32_e32 v12, v11
	s_waitcnt lgkmcnt(0)
	s_cmp_lg_u32 s2, 1
	s_cselect_b64 s[12:13], -1, 0
	s_and_b64 vcc, exec, s[12:13]
	s_cbranch_vccnz .LBB61_7
; %bb.6:
	v_mul_u32_u24_e32 v5, 0x1556, v0
	v_bfe_u32 v12, v5, 16, 1
.LBB61_7:
	s_ashr_i32 s7, s6, 31
	s_lshl_b64 s[2:3], s[6:7], 2
	s_add_u32 s0, s0, s2
	s_addc_u32 s1, s1, s3
	s_load_dwordx2 s[16:17], s[0:1], 0x0
	s_load_dwordx2 s[8:9], s[4:5], 0x40
	v_mov_b32_e32 v5, 0
	v_mov_b32_e32 v6, 0
	s_waitcnt lgkmcnt(0)
	s_cmp_ge_i32 s16, s17
	s_cbranch_scc1 .LBB61_12
; %bb.8:
	s_load_dwordx4 s[0:3], s[4:5], 0x18
	s_load_dwordx2 s[14:15], s[4:5], 0x30
	v_mad_u64_u32 v[5:6], s[4:5], s16, 24, v[0:1]
	s_mul_i32 s4, s10, 24
	s_sub_i32 s7, s17, s10
	v_subrev_u32_e32 v7, s4, v5
	v_mov_b32_e32 v5, 0
	s_sub_i32 s11, s16, s10
	v_mul_u32_u24_e32 v13, 0xaab, v0
	v_mov_b32_e32 v6, 0
	v_mov_b32_e32 v8, 0
	s_branch .LBB61_10
.LBB61_9:                               ;   in Loop: Header=BB61_10 Depth=1
	s_or_b64 exec, exec, s[4:5]
	s_add_i32 s11, s11, 2
	s_cmp_ge_i32 s11, s7
	v_add_u32_e32 v7, 48, v7
	s_cbranch_scc1 .LBB61_12
.LBB61_10:                              ; =>This Inner Loop Header: Depth=1
	v_add_u32_sdwa v9, v13, s11 dst_sel:DWORD dst_unused:UNUSED_PAD src0_sel:WORD_1 src1_sel:DWORD
	v_cmp_gt_i32_e32 vcc, s7, v9
	s_and_saveexec_b64 s[4:5], vcc
	s_cbranch_execz .LBB61_9
; %bb.11:                               ;   in Loop: Header=BB61_10 Depth=1
	v_ashrrev_i32_e32 v10, 31, v9
	v_lshlrev_b64 v[9:10], 2, v[9:10]
	s_waitcnt lgkmcnt(0)
	v_mov_b32_e32 v14, s1
	v_add_co_u32_e32 v9, vcc, s0, v9
	v_addc_co_u32_e32 v10, vcc, v14, v10, vcc
	global_load_dword v14, v[9:10], off
	v_lshlrev_b64 v[9:10], 3, v[7:8]
	v_mov_b32_e32 v15, s3
	v_add_co_u32_e32 v9, vcc, s2, v9
	v_addc_co_u32_e32 v10, vcc, v15, v10, vcc
	v_mov_b32_e32 v16, s15
	global_load_dwordx2 v[9:10], v[9:10], off
	s_waitcnt vmcnt(1)
	v_subrev_u32_e32 v14, s10, v14
	v_lshl_or_b32 v14, v14, 1, v12
	v_ashrrev_i32_e32 v15, 31, v14
	v_lshlrev_b64 v[14:15], 3, v[14:15]
	v_add_co_u32_e32 v14, vcc, s14, v14
	v_addc_co_u32_e32 v15, vcc, v16, v15, vcc
	global_load_dwordx2 v[14:15], v[14:15], off
	s_waitcnt vmcnt(0)
	v_fma_f64 v[5:6], v[9:10], v[14:15], v[5:6]
	s_branch .LBB61_9
.LBB61_12:
	v_lshlrev_b32_e32 v9, 3, v0
	v_cmp_gt_u32_e32 vcc, 24, v0
	ds_write_b64 v9, v[5:6]
	s_waitcnt lgkmcnt(0)
	; wave barrier
	s_and_saveexec_b64 s[0:1], vcc
	s_cbranch_execz .LBB61_14
; %bb.13:
	ds_read2_b64 v[12:15], v9 offset1:24
	s_waitcnt lgkmcnt(0)
	v_add_f64 v[7:8], v[14:15], v[12:13]
	ds_write_b64 v9, v[7:8]
.LBB61_14:
	s_or_b64 exec, exec, s[0:1]
	s_and_b64 vcc, exec, s[12:13]
	s_waitcnt lgkmcnt(0)
	; wave barrier
	s_cbranch_vccz .LBB61_20
; %bb.15:
	v_cmp_eq_u32_e32 vcc, 0, v11
	s_and_saveexec_b64 s[0:1], vcc
	s_cbranch_execz .LBB61_17
; %bb.16:
	ds_read2_b64 v[10:13], v9 offset1:1
	s_waitcnt lgkmcnt(0)
	v_add_f64 v[7:8], v[12:13], v[10:11]
	ds_write_b64 v9, v[7:8]
.LBB61_17:
	s_or_b64 exec, exec, s[0:1]
	v_mov_b32_e32 v8, v6
	v_cmp_gt_u32_e32 vcc, 12, v0
	v_mov_b32_e32 v7, v5
	s_waitcnt lgkmcnt(0)
	; wave barrier
	s_and_saveexec_b64 s[0:1], vcc
; %bb.18:
	v_lshl_add_u32 v7, v0, 3, v9
	ds_read_b64 v[7:8], v7
; %bb.19:
	s_or_b64 exec, exec, s[0:1]
	s_branch .LBB61_26
.LBB61_20:
                                        ; implicit-def: $vgpr7_vgpr8
	s_cbranch_execz .LBB61_26
; %bb.21:
	v_cmp_lt_u32_e32 vcc, 11, v0
	s_and_saveexec_b64 s[0:1], vcc
	s_xor_b64 s[0:1], exec, s[0:1]
	s_cbranch_execz .LBB61_23
; %bb.22:
	s_waitcnt lgkmcnt(0)
                                        ; implicit-def: $vgpr9
.LBB61_23:
	s_andn2_saveexec_b64 s[0:1], s[0:1]
	s_cbranch_execz .LBB61_25
; %bb.24:
	s_waitcnt lgkmcnt(0)
	ds_read2_b64 v[5:8], v9 offset1:12
	s_waitcnt lgkmcnt(0)
	v_add_f64 v[5:6], v[7:8], v[5:6]
	ds_write_b64 v9, v[5:6]
	s_waitcnt lgkmcnt(0)
	ds_read_b64 v[5:6], v9
.LBB61_25:
	s_or_b64 exec, exec, s[0:1]
	s_waitcnt lgkmcnt(0)
	v_mov_b32_e32 v8, v6
	v_mov_b32_e32 v7, v5
.LBB61_26:
	v_cmp_gt_u32_e32 vcc, 12, v0
	s_and_b64 exec, exec, vcc
	s_cbranch_execz .LBB61_31
; %bb.27:
	v_cmp_eq_f64_e32 vcc, 0, v[1:2]
	s_waitcnt lgkmcnt(0)
	v_mul_f64 v[3:4], v[3:4], v[7:8]
	s_and_saveexec_b64 s[0:1], vcc
	s_xor_b64 s[0:1], exec, s[0:1]
	s_cbranch_execz .LBB61_29
; %bb.28:
	v_mad_u64_u32 v[0:1], s[2:3], s6, 12, v[0:1]
	v_mov_b32_e32 v1, 0
	v_mov_b32_e32 v2, s9
	v_lshlrev_b64 v[0:1], 3, v[0:1]
	v_add_co_u32_e32 v0, vcc, s8, v0
	v_addc_co_u32_e32 v1, vcc, v2, v1, vcc
	global_store_dwordx2 v[0:1], v[3:4], off
                                        ; implicit-def: $vgpr0
                                        ; implicit-def: $vgpr1_vgpr2
                                        ; implicit-def: $vgpr3_vgpr4
.LBB61_29:
	s_andn2_saveexec_b64 s[0:1], s[0:1]
	s_cbranch_execz .LBB61_31
; %bb.30:
	v_mad_u64_u32 v[5:6], s[0:1], s6, 12, v[0:1]
	v_mov_b32_e32 v6, 0
	v_mov_b32_e32 v0, s9
	v_lshlrev_b64 v[5:6], 3, v[5:6]
	v_add_co_u32_e32 v5, vcc, s8, v5
	v_addc_co_u32_e32 v6, vcc, v0, v6, vcc
	global_load_dwordx2 v[7:8], v[5:6], off
	s_waitcnt vmcnt(0)
	v_fma_f64 v[0:1], v[1:2], v[7:8], v[3:4]
	global_store_dwordx2 v[5:6], v[0:1], off
.LBB61_31:
	s_endpgm
	.section	.rodata,"a",@progbits
	.p2align	6, 0x0
	.amdhsa_kernel _ZN9rocsparseL22gebsrmvn_mxn_16_kernelILj48ELj12ELj2EdEEvi20rocsparse_direction_NS_24const_host_device_scalarIT2_EEPKiS6_PKS3_iiS8_S4_PS3_21rocsparse_index_base_b
		.amdhsa_group_segment_fixed_size 384
		.amdhsa_private_segment_fixed_size 0
		.amdhsa_kernarg_size 80
		.amdhsa_user_sgpr_count 6
		.amdhsa_user_sgpr_private_segment_buffer 1
		.amdhsa_user_sgpr_dispatch_ptr 0
		.amdhsa_user_sgpr_queue_ptr 0
		.amdhsa_user_sgpr_kernarg_segment_ptr 1
		.amdhsa_user_sgpr_dispatch_id 0
		.amdhsa_user_sgpr_flat_scratch_init 0
		.amdhsa_user_sgpr_private_segment_size 0
		.amdhsa_uses_dynamic_stack 0
		.amdhsa_system_sgpr_private_segment_wavefront_offset 0
		.amdhsa_system_sgpr_workgroup_id_x 1
		.amdhsa_system_sgpr_workgroup_id_y 0
		.amdhsa_system_sgpr_workgroup_id_z 0
		.amdhsa_system_sgpr_workgroup_info 0
		.amdhsa_system_vgpr_workitem_id 0
		.amdhsa_next_free_vgpr 17
		.amdhsa_next_free_sgpr 18
		.amdhsa_reserve_vcc 1
		.amdhsa_reserve_flat_scratch 0
		.amdhsa_float_round_mode_32 0
		.amdhsa_float_round_mode_16_64 0
		.amdhsa_float_denorm_mode_32 3
		.amdhsa_float_denorm_mode_16_64 3
		.amdhsa_dx10_clamp 1
		.amdhsa_ieee_mode 1
		.amdhsa_fp16_overflow 0
		.amdhsa_exception_fp_ieee_invalid_op 0
		.amdhsa_exception_fp_denorm_src 0
		.amdhsa_exception_fp_ieee_div_zero 0
		.amdhsa_exception_fp_ieee_overflow 0
		.amdhsa_exception_fp_ieee_underflow 0
		.amdhsa_exception_fp_ieee_inexact 0
		.amdhsa_exception_int_div_zero 0
	.end_amdhsa_kernel
	.section	.text._ZN9rocsparseL22gebsrmvn_mxn_16_kernelILj48ELj12ELj2EdEEvi20rocsparse_direction_NS_24const_host_device_scalarIT2_EEPKiS6_PKS3_iiS8_S4_PS3_21rocsparse_index_base_b,"axG",@progbits,_ZN9rocsparseL22gebsrmvn_mxn_16_kernelILj48ELj12ELj2EdEEvi20rocsparse_direction_NS_24const_host_device_scalarIT2_EEPKiS6_PKS3_iiS8_S4_PS3_21rocsparse_index_base_b,comdat
.Lfunc_end61:
	.size	_ZN9rocsparseL22gebsrmvn_mxn_16_kernelILj48ELj12ELj2EdEEvi20rocsparse_direction_NS_24const_host_device_scalarIT2_EEPKiS6_PKS3_iiS8_S4_PS3_21rocsparse_index_base_b, .Lfunc_end61-_ZN9rocsparseL22gebsrmvn_mxn_16_kernelILj48ELj12ELj2EdEEvi20rocsparse_direction_NS_24const_host_device_scalarIT2_EEPKiS6_PKS3_iiS8_S4_PS3_21rocsparse_index_base_b
                                        ; -- End function
	.set _ZN9rocsparseL22gebsrmvn_mxn_16_kernelILj48ELj12ELj2EdEEvi20rocsparse_direction_NS_24const_host_device_scalarIT2_EEPKiS6_PKS3_iiS8_S4_PS3_21rocsparse_index_base_b.num_vgpr, 17
	.set _ZN9rocsparseL22gebsrmvn_mxn_16_kernelILj48ELj12ELj2EdEEvi20rocsparse_direction_NS_24const_host_device_scalarIT2_EEPKiS6_PKS3_iiS8_S4_PS3_21rocsparse_index_base_b.num_agpr, 0
	.set _ZN9rocsparseL22gebsrmvn_mxn_16_kernelILj48ELj12ELj2EdEEvi20rocsparse_direction_NS_24const_host_device_scalarIT2_EEPKiS6_PKS3_iiS8_S4_PS3_21rocsparse_index_base_b.numbered_sgpr, 18
	.set _ZN9rocsparseL22gebsrmvn_mxn_16_kernelILj48ELj12ELj2EdEEvi20rocsparse_direction_NS_24const_host_device_scalarIT2_EEPKiS6_PKS3_iiS8_S4_PS3_21rocsparse_index_base_b.num_named_barrier, 0
	.set _ZN9rocsparseL22gebsrmvn_mxn_16_kernelILj48ELj12ELj2EdEEvi20rocsparse_direction_NS_24const_host_device_scalarIT2_EEPKiS6_PKS3_iiS8_S4_PS3_21rocsparse_index_base_b.private_seg_size, 0
	.set _ZN9rocsparseL22gebsrmvn_mxn_16_kernelILj48ELj12ELj2EdEEvi20rocsparse_direction_NS_24const_host_device_scalarIT2_EEPKiS6_PKS3_iiS8_S4_PS3_21rocsparse_index_base_b.uses_vcc, 1
	.set _ZN9rocsparseL22gebsrmvn_mxn_16_kernelILj48ELj12ELj2EdEEvi20rocsparse_direction_NS_24const_host_device_scalarIT2_EEPKiS6_PKS3_iiS8_S4_PS3_21rocsparse_index_base_b.uses_flat_scratch, 0
	.set _ZN9rocsparseL22gebsrmvn_mxn_16_kernelILj48ELj12ELj2EdEEvi20rocsparse_direction_NS_24const_host_device_scalarIT2_EEPKiS6_PKS3_iiS8_S4_PS3_21rocsparse_index_base_b.has_dyn_sized_stack, 0
	.set _ZN9rocsparseL22gebsrmvn_mxn_16_kernelILj48ELj12ELj2EdEEvi20rocsparse_direction_NS_24const_host_device_scalarIT2_EEPKiS6_PKS3_iiS8_S4_PS3_21rocsparse_index_base_b.has_recursion, 0
	.set _ZN9rocsparseL22gebsrmvn_mxn_16_kernelILj48ELj12ELj2EdEEvi20rocsparse_direction_NS_24const_host_device_scalarIT2_EEPKiS6_PKS3_iiS8_S4_PS3_21rocsparse_index_base_b.has_indirect_call, 0
	.section	.AMDGPU.csdata,"",@progbits
; Kernel info:
; codeLenInByte = 880
; TotalNumSgprs: 22
; NumVgprs: 17
; ScratchSize: 0
; MemoryBound: 0
; FloatMode: 240
; IeeeMode: 1
; LDSByteSize: 384 bytes/workgroup (compile time only)
; SGPRBlocks: 2
; VGPRBlocks: 4
; NumSGPRsForWavesPerEU: 22
; NumVGPRsForWavesPerEU: 17
; Occupancy: 10
; WaveLimiterHint : 1
; COMPUTE_PGM_RSRC2:SCRATCH_EN: 0
; COMPUTE_PGM_RSRC2:USER_SGPR: 6
; COMPUTE_PGM_RSRC2:TRAP_HANDLER: 0
; COMPUTE_PGM_RSRC2:TGID_X_EN: 1
; COMPUTE_PGM_RSRC2:TGID_Y_EN: 0
; COMPUTE_PGM_RSRC2:TGID_Z_EN: 0
; COMPUTE_PGM_RSRC2:TIDIG_COMP_CNT: 0
	.section	.text._ZN9rocsparseL22gebsrmvn_mxn_16_kernelILj48ELj12ELj3EdEEvi20rocsparse_direction_NS_24const_host_device_scalarIT2_EEPKiS6_PKS3_iiS8_S4_PS3_21rocsparse_index_base_b,"axG",@progbits,_ZN9rocsparseL22gebsrmvn_mxn_16_kernelILj48ELj12ELj3EdEEvi20rocsparse_direction_NS_24const_host_device_scalarIT2_EEPKiS6_PKS3_iiS8_S4_PS3_21rocsparse_index_base_b,comdat
	.globl	_ZN9rocsparseL22gebsrmvn_mxn_16_kernelILj48ELj12ELj3EdEEvi20rocsparse_direction_NS_24const_host_device_scalarIT2_EEPKiS6_PKS3_iiS8_S4_PS3_21rocsparse_index_base_b ; -- Begin function _ZN9rocsparseL22gebsrmvn_mxn_16_kernelILj48ELj12ELj3EdEEvi20rocsparse_direction_NS_24const_host_device_scalarIT2_EEPKiS6_PKS3_iiS8_S4_PS3_21rocsparse_index_base_b
	.p2align	8
	.type	_ZN9rocsparseL22gebsrmvn_mxn_16_kernelILj48ELj12ELj3EdEEvi20rocsparse_direction_NS_24const_host_device_scalarIT2_EEPKiS6_PKS3_iiS8_S4_PS3_21rocsparse_index_base_b,@function
_ZN9rocsparseL22gebsrmvn_mxn_16_kernelILj48ELj12ELj3EdEEvi20rocsparse_direction_NS_24const_host_device_scalarIT2_EEPKiS6_PKS3_iiS8_S4_PS3_21rocsparse_index_base_b: ; @_ZN9rocsparseL22gebsrmvn_mxn_16_kernelILj48ELj12ELj3EdEEvi20rocsparse_direction_NS_24const_host_device_scalarIT2_EEPKiS6_PKS3_iiS8_S4_PS3_21rocsparse_index_base_b
; %bb.0:
	s_load_dwordx2 s[10:11], s[4:5], 0x48
	s_load_dwordx2 s[8:9], s[4:5], 0x8
	;; [unrolled: 1-line block ×3, first 2 shown]
	s_waitcnt lgkmcnt(0)
	s_bitcmp1_b32 s11, 0
	s_cselect_b64 s[12:13], -1, 0
	v_mov_b32_e32 v3, s8
	s_xor_b64 s[2:3], s[12:13], -1
	s_and_b64 vcc, exec, s[12:13]
	v_mov_b32_e32 v4, s9
	s_cbranch_vccnz .LBB62_2
; %bb.1:
	v_mov_b32_e32 v1, s8
	v_mov_b32_e32 v2, s9
	flat_load_dwordx2 v[3:4], v[1:2]
.LBB62_2:
	v_mov_b32_e32 v2, s1
	s_andn2_b64 vcc, exec, s[2:3]
	v_mov_b32_e32 v1, s0
	s_cbranch_vccnz .LBB62_4
; %bb.3:
	v_mov_b32_e32 v2, s1
	v_mov_b32_e32 v1, s0
	flat_load_dwordx2 v[1:2], v[1:2]
.LBB62_4:
	s_waitcnt vmcnt(0) lgkmcnt(0)
	v_cmp_neq_f64_e32 vcc, 0, v[3:4]
	v_cmp_neq_f64_e64 s[0:1], 1.0, v[1:2]
	s_or_b64 s[0:1], vcc, s[0:1]
	s_and_saveexec_b64 s[2:3], s[0:1]
	s_cbranch_execz .LBB62_33
; %bb.5:
	s_load_dwordx2 s[0:1], s[4:5], 0x10
	s_load_dword s2, s[4:5], 0x4
	v_mul_u32_u24_e32 v6, 0x5556, v0
	v_mov_b32_e32 v5, 3
	v_mul_lo_u16_sdwa v6, v6, v5 dst_sel:DWORD dst_unused:UNUSED_PAD src0_sel:WORD_1 src1_sel:DWORD
	v_sub_u16_e32 v12, v0, v6
	s_waitcnt lgkmcnt(0)
	s_cmp_lg_u32 s2, 1
	s_cselect_b64 s[12:13], -1, 0
	s_and_b64 vcc, exec, s[12:13]
	v_mov_b32_e32 v7, v12
	s_cbranch_vccnz .LBB62_7
; %bb.6:
	s_movk_i32 s2, 0x1556
	v_mul_u32_u24_sdwa v6, v0, s2 dst_sel:DWORD dst_unused:UNUSED_PAD src0_sel:WORD_0 src1_sel:DWORD
	s_movk_i32 s2, 0x56
	v_mul_lo_u16_sdwa v7, v6, s2 dst_sel:DWORD dst_unused:UNUSED_PAD src0_sel:WORD_1 src1_sel:DWORD
	v_mul_lo_u16_sdwa v5, v7, v5 dst_sel:DWORD dst_unused:UNUSED_PAD src0_sel:BYTE_1 src1_sel:DWORD
	v_sub_u16_sdwa v5, v6, v5 dst_sel:DWORD dst_unused:UNUSED_PAD src0_sel:WORD_1 src1_sel:DWORD
	v_and_b32_e32 v7, 0xff, v5
.LBB62_7:
	s_ashr_i32 s7, s6, 31
	s_lshl_b64 s[2:3], s[6:7], 2
	s_add_u32 s0, s0, s2
	s_addc_u32 s1, s1, s3
	s_load_dwordx2 s[16:17], s[0:1], 0x0
	s_load_dwordx2 s[8:9], s[4:5], 0x40
	v_mov_b32_e32 v5, 0
	v_mov_b32_e32 v6, 0
	s_waitcnt lgkmcnt(0)
	s_cmp_ge_i32 s16, s17
	s_cbranch_scc1 .LBB62_12
; %bb.8:
	s_load_dwordx4 s[0:3], s[4:5], 0x18
	s_load_dwordx2 s[14:15], s[4:5], 0x30
	v_mad_u64_u32 v[5:6], s[4:5], s16, 36, v[0:1]
	s_movk_i32 s4, 0x71d
	v_mul_u32_u24_sdwa v13, v0, s4 dst_sel:DWORD dst_unused:UNUSED_PAD src0_sel:WORD_0 src1_sel:DWORD
	s_mul_i32 s4, s10, 36
	v_subrev_u32_e32 v8, s4, v5
	v_mov_b32_e32 v5, 0
	s_sub_i32 s7, s17, s10
	s_sub_i32 s11, s16, s10
	v_mov_b32_e32 v6, 0
	v_mov_b32_e32 v9, 0
	s_branch .LBB62_10
.LBB62_9:                               ;   in Loop: Header=BB62_10 Depth=1
	s_or_b64 exec, exec, s[4:5]
	s_add_i32 s11, s11, 1
	s_cmp_ge_i32 s11, s7
	v_add_u32_e32 v8, 36, v8
	s_cbranch_scc1 .LBB62_12
.LBB62_10:                              ; =>This Inner Loop Header: Depth=1
	v_add_u32_sdwa v10, v13, s11 dst_sel:DWORD dst_unused:UNUSED_PAD src0_sel:WORD_1 src1_sel:DWORD
	v_cmp_gt_i32_e32 vcc, s7, v10
	s_and_saveexec_b64 s[4:5], vcc
	s_cbranch_execz .LBB62_9
; %bb.11:                               ;   in Loop: Header=BB62_10 Depth=1
	v_ashrrev_i32_e32 v11, 31, v10
	v_lshlrev_b64 v[10:11], 2, v[10:11]
	s_waitcnt lgkmcnt(0)
	v_mov_b32_e32 v14, s1
	v_add_co_u32_e32 v10, vcc, s0, v10
	v_addc_co_u32_e32 v11, vcc, v14, v11, vcc
	global_load_dword v14, v[10:11], off
	v_lshlrev_b64 v[10:11], 3, v[8:9]
	v_mov_b32_e32 v16, s3
	v_add_co_u32_e32 v10, vcc, s2, v10
	v_addc_co_u32_e32 v11, vcc, v16, v11, vcc
	v_mov_b32_e32 v17, s15
	global_load_dwordx2 v[10:11], v[10:11], off
	s_waitcnt vmcnt(1)
	v_subrev_u32_e32 v14, s10, v14
	v_mad_u64_u32 v[14:15], s[16:17], v14, 3, v[7:8]
	v_ashrrev_i32_e32 v15, 31, v14
	v_lshlrev_b64 v[14:15], 3, v[14:15]
	v_add_co_u32_e32 v14, vcc, s14, v14
	v_addc_co_u32_e32 v15, vcc, v17, v15, vcc
	global_load_dwordx2 v[14:15], v[14:15], off
	s_waitcnt vmcnt(0)
	v_fma_f64 v[5:6], v[10:11], v[14:15], v[5:6]
	s_branch .LBB62_9
.LBB62_12:
	v_lshlrev_b32_e32 v9, 3, v0
	s_and_b64 vcc, exec, s[12:13]
	ds_write_b64 v9, v[5:6]
	s_waitcnt lgkmcnt(0)
	; wave barrier
	s_cbranch_vccz .LBB62_20
; %bb.13:
	v_cmp_eq_u16_e32 vcc, 0, v12
	s_and_saveexec_b64 s[0:1], vcc
	s_cbranch_execz .LBB62_15
; %bb.14:
	ds_read2_b64 v[10:13], v9 offset1:2
	s_waitcnt lgkmcnt(0)
	v_add_f64 v[7:8], v[12:13], v[10:11]
	ds_write_b64 v9, v[7:8]
.LBB62_15:
	s_or_b64 exec, exec, s[0:1]
	s_waitcnt lgkmcnt(0)
	; wave barrier
	s_and_saveexec_b64 s[0:1], vcc
	s_cbranch_execz .LBB62_17
; %bb.16:
	ds_read2_b64 v[10:13], v9 offset1:1
	s_waitcnt lgkmcnt(0)
	v_add_f64 v[7:8], v[12:13], v[10:11]
	ds_write_b64 v9, v[7:8]
.LBB62_17:
	s_or_b64 exec, exec, s[0:1]
	v_mov_b32_e32 v8, v6
	v_cmp_gt_u32_e32 vcc, 12, v0
	v_mov_b32_e32 v7, v5
	s_waitcnt lgkmcnt(0)
	; wave barrier
	s_and_saveexec_b64 s[0:1], vcc
; %bb.18:
	v_lshl_add_u32 v7, v0, 4, v9
	ds_read_b64 v[7:8], v7
; %bb.19:
	s_or_b64 exec, exec, s[0:1]
	v_cmp_gt_u32_e64 s[0:1], 12, v0
	s_branch .LBB62_28
.LBB62_20:
                                        ; implicit-def: $vgpr7_vgpr8
	v_cmp_gt_u32_e64 s[0:1], 12, v0
	s_cbranch_execz .LBB62_28
; %bb.21:
	v_cmp_lt_u32_e32 vcc, 11, v0
	s_and_saveexec_b64 s[2:3], s[0:1]
	s_cbranch_execz .LBB62_23
; %bb.22:
	ds_read2_b64 v[10:13], v9 offset1:24
	s_waitcnt lgkmcnt(0)
	v_add_f64 v[7:8], v[12:13], v[10:11]
	ds_write_b64 v9, v[7:8]
.LBB62_23:
	s_or_b64 exec, exec, s[2:3]
	s_waitcnt lgkmcnt(0)
	; wave barrier
	s_and_saveexec_b64 s[0:1], vcc
	s_xor_b64 s[0:1], exec, s[0:1]
; %bb.24:
                                        ; implicit-def: $vgpr9
; %bb.25:
	s_andn2_saveexec_b64 s[0:1], s[0:1]
	s_cbranch_execz .LBB62_27
; %bb.26:
	ds_read2_b64 v[5:8], v9 offset1:12
	s_waitcnt lgkmcnt(0)
	v_add_f64 v[5:6], v[7:8], v[5:6]
	ds_write_b64 v9, v[5:6]
	s_waitcnt lgkmcnt(0)
	ds_read_b64 v[5:6], v9
.LBB62_27:
	s_or_b64 exec, exec, s[0:1]
	s_waitcnt lgkmcnt(0)
	v_mov_b32_e32 v8, v6
	v_mov_b32_e32 v7, v5
.LBB62_28:
	v_cmp_gt_u32_e32 vcc, 12, v0
	s_and_b64 exec, exec, vcc
	s_cbranch_execz .LBB62_33
; %bb.29:
	v_cmp_eq_f64_e32 vcc, 0, v[1:2]
	s_waitcnt lgkmcnt(0)
	v_mul_f64 v[3:4], v[3:4], v[7:8]
	s_and_saveexec_b64 s[0:1], vcc
	s_xor_b64 s[0:1], exec, s[0:1]
	s_cbranch_execz .LBB62_31
; %bb.30:
	v_mad_u64_u32 v[0:1], s[2:3], s6, 12, v[0:1]
	v_mov_b32_e32 v1, 0
	v_mov_b32_e32 v2, s9
	v_lshlrev_b64 v[0:1], 3, v[0:1]
	v_add_co_u32_e32 v0, vcc, s8, v0
	v_addc_co_u32_e32 v1, vcc, v2, v1, vcc
	global_store_dwordx2 v[0:1], v[3:4], off
                                        ; implicit-def: $vgpr0
                                        ; implicit-def: $vgpr1_vgpr2
                                        ; implicit-def: $vgpr3_vgpr4
.LBB62_31:
	s_andn2_saveexec_b64 s[0:1], s[0:1]
	s_cbranch_execz .LBB62_33
; %bb.32:
	v_mad_u64_u32 v[5:6], s[0:1], s6, 12, v[0:1]
	v_mov_b32_e32 v6, 0
	v_mov_b32_e32 v0, s9
	v_lshlrev_b64 v[5:6], 3, v[5:6]
	v_add_co_u32_e32 v5, vcc, s8, v5
	v_addc_co_u32_e32 v6, vcc, v0, v6, vcc
	global_load_dwordx2 v[7:8], v[5:6], off
	s_waitcnt vmcnt(0)
	v_fma_f64 v[0:1], v[1:2], v[7:8], v[3:4]
	global_store_dwordx2 v[5:6], v[0:1], off
.LBB62_33:
	s_endpgm
	.section	.rodata,"a",@progbits
	.p2align	6, 0x0
	.amdhsa_kernel _ZN9rocsparseL22gebsrmvn_mxn_16_kernelILj48ELj12ELj3EdEEvi20rocsparse_direction_NS_24const_host_device_scalarIT2_EEPKiS6_PKS3_iiS8_S4_PS3_21rocsparse_index_base_b
		.amdhsa_group_segment_fixed_size 288
		.amdhsa_private_segment_fixed_size 0
		.amdhsa_kernarg_size 80
		.amdhsa_user_sgpr_count 6
		.amdhsa_user_sgpr_private_segment_buffer 1
		.amdhsa_user_sgpr_dispatch_ptr 0
		.amdhsa_user_sgpr_queue_ptr 0
		.amdhsa_user_sgpr_kernarg_segment_ptr 1
		.amdhsa_user_sgpr_dispatch_id 0
		.amdhsa_user_sgpr_flat_scratch_init 0
		.amdhsa_user_sgpr_private_segment_size 0
		.amdhsa_uses_dynamic_stack 0
		.amdhsa_system_sgpr_private_segment_wavefront_offset 0
		.amdhsa_system_sgpr_workgroup_id_x 1
		.amdhsa_system_sgpr_workgroup_id_y 0
		.amdhsa_system_sgpr_workgroup_id_z 0
		.amdhsa_system_sgpr_workgroup_info 0
		.amdhsa_system_vgpr_workitem_id 0
		.amdhsa_next_free_vgpr 18
		.amdhsa_next_free_sgpr 18
		.amdhsa_reserve_vcc 1
		.amdhsa_reserve_flat_scratch 0
		.amdhsa_float_round_mode_32 0
		.amdhsa_float_round_mode_16_64 0
		.amdhsa_float_denorm_mode_32 3
		.amdhsa_float_denorm_mode_16_64 3
		.amdhsa_dx10_clamp 1
		.amdhsa_ieee_mode 1
		.amdhsa_fp16_overflow 0
		.amdhsa_exception_fp_ieee_invalid_op 0
		.amdhsa_exception_fp_denorm_src 0
		.amdhsa_exception_fp_ieee_div_zero 0
		.amdhsa_exception_fp_ieee_overflow 0
		.amdhsa_exception_fp_ieee_underflow 0
		.amdhsa_exception_fp_ieee_inexact 0
		.amdhsa_exception_int_div_zero 0
	.end_amdhsa_kernel
	.section	.text._ZN9rocsparseL22gebsrmvn_mxn_16_kernelILj48ELj12ELj3EdEEvi20rocsparse_direction_NS_24const_host_device_scalarIT2_EEPKiS6_PKS3_iiS8_S4_PS3_21rocsparse_index_base_b,"axG",@progbits,_ZN9rocsparseL22gebsrmvn_mxn_16_kernelILj48ELj12ELj3EdEEvi20rocsparse_direction_NS_24const_host_device_scalarIT2_EEPKiS6_PKS3_iiS8_S4_PS3_21rocsparse_index_base_b,comdat
.Lfunc_end62:
	.size	_ZN9rocsparseL22gebsrmvn_mxn_16_kernelILj48ELj12ELj3EdEEvi20rocsparse_direction_NS_24const_host_device_scalarIT2_EEPKiS6_PKS3_iiS8_S4_PS3_21rocsparse_index_base_b, .Lfunc_end62-_ZN9rocsparseL22gebsrmvn_mxn_16_kernelILj48ELj12ELj3EdEEvi20rocsparse_direction_NS_24const_host_device_scalarIT2_EEPKiS6_PKS3_iiS8_S4_PS3_21rocsparse_index_base_b
                                        ; -- End function
	.set _ZN9rocsparseL22gebsrmvn_mxn_16_kernelILj48ELj12ELj3EdEEvi20rocsparse_direction_NS_24const_host_device_scalarIT2_EEPKiS6_PKS3_iiS8_S4_PS3_21rocsparse_index_base_b.num_vgpr, 18
	.set _ZN9rocsparseL22gebsrmvn_mxn_16_kernelILj48ELj12ELj3EdEEvi20rocsparse_direction_NS_24const_host_device_scalarIT2_EEPKiS6_PKS3_iiS8_S4_PS3_21rocsparse_index_base_b.num_agpr, 0
	.set _ZN9rocsparseL22gebsrmvn_mxn_16_kernelILj48ELj12ELj3EdEEvi20rocsparse_direction_NS_24const_host_device_scalarIT2_EEPKiS6_PKS3_iiS8_S4_PS3_21rocsparse_index_base_b.numbered_sgpr, 18
	.set _ZN9rocsparseL22gebsrmvn_mxn_16_kernelILj48ELj12ELj3EdEEvi20rocsparse_direction_NS_24const_host_device_scalarIT2_EEPKiS6_PKS3_iiS8_S4_PS3_21rocsparse_index_base_b.num_named_barrier, 0
	.set _ZN9rocsparseL22gebsrmvn_mxn_16_kernelILj48ELj12ELj3EdEEvi20rocsparse_direction_NS_24const_host_device_scalarIT2_EEPKiS6_PKS3_iiS8_S4_PS3_21rocsparse_index_base_b.private_seg_size, 0
	.set _ZN9rocsparseL22gebsrmvn_mxn_16_kernelILj48ELj12ELj3EdEEvi20rocsparse_direction_NS_24const_host_device_scalarIT2_EEPKiS6_PKS3_iiS8_S4_PS3_21rocsparse_index_base_b.uses_vcc, 1
	.set _ZN9rocsparseL22gebsrmvn_mxn_16_kernelILj48ELj12ELj3EdEEvi20rocsparse_direction_NS_24const_host_device_scalarIT2_EEPKiS6_PKS3_iiS8_S4_PS3_21rocsparse_index_base_b.uses_flat_scratch, 0
	.set _ZN9rocsparseL22gebsrmvn_mxn_16_kernelILj48ELj12ELj3EdEEvi20rocsparse_direction_NS_24const_host_device_scalarIT2_EEPKiS6_PKS3_iiS8_S4_PS3_21rocsparse_index_base_b.has_dyn_sized_stack, 0
	.set _ZN9rocsparseL22gebsrmvn_mxn_16_kernelILj48ELj12ELj3EdEEvi20rocsparse_direction_NS_24const_host_device_scalarIT2_EEPKiS6_PKS3_iiS8_S4_PS3_21rocsparse_index_base_b.has_recursion, 0
	.set _ZN9rocsparseL22gebsrmvn_mxn_16_kernelILj48ELj12ELj3EdEEvi20rocsparse_direction_NS_24const_host_device_scalarIT2_EEPKiS6_PKS3_iiS8_S4_PS3_21rocsparse_index_base_b.has_indirect_call, 0
	.section	.AMDGPU.csdata,"",@progbits
; Kernel info:
; codeLenInByte = 980
; TotalNumSgprs: 22
; NumVgprs: 18
; ScratchSize: 0
; MemoryBound: 0
; FloatMode: 240
; IeeeMode: 1
; LDSByteSize: 288 bytes/workgroup (compile time only)
; SGPRBlocks: 2
; VGPRBlocks: 4
; NumSGPRsForWavesPerEU: 22
; NumVGPRsForWavesPerEU: 18
; Occupancy: 10
; WaveLimiterHint : 1
; COMPUTE_PGM_RSRC2:SCRATCH_EN: 0
; COMPUTE_PGM_RSRC2:USER_SGPR: 6
; COMPUTE_PGM_RSRC2:TRAP_HANDLER: 0
; COMPUTE_PGM_RSRC2:TGID_X_EN: 1
; COMPUTE_PGM_RSRC2:TGID_Y_EN: 0
; COMPUTE_PGM_RSRC2:TGID_Z_EN: 0
; COMPUTE_PGM_RSRC2:TIDIG_COMP_CNT: 0
	.section	.text._ZN9rocsparseL22gebsrmvn_mxn_16_kernelILj60ELj12ELj4EdEEvi20rocsparse_direction_NS_24const_host_device_scalarIT2_EEPKiS6_PKS3_iiS8_S4_PS3_21rocsparse_index_base_b,"axG",@progbits,_ZN9rocsparseL22gebsrmvn_mxn_16_kernelILj60ELj12ELj4EdEEvi20rocsparse_direction_NS_24const_host_device_scalarIT2_EEPKiS6_PKS3_iiS8_S4_PS3_21rocsparse_index_base_b,comdat
	.globl	_ZN9rocsparseL22gebsrmvn_mxn_16_kernelILj60ELj12ELj4EdEEvi20rocsparse_direction_NS_24const_host_device_scalarIT2_EEPKiS6_PKS3_iiS8_S4_PS3_21rocsparse_index_base_b ; -- Begin function _ZN9rocsparseL22gebsrmvn_mxn_16_kernelILj60ELj12ELj4EdEEvi20rocsparse_direction_NS_24const_host_device_scalarIT2_EEPKiS6_PKS3_iiS8_S4_PS3_21rocsparse_index_base_b
	.p2align	8
	.type	_ZN9rocsparseL22gebsrmvn_mxn_16_kernelILj60ELj12ELj4EdEEvi20rocsparse_direction_NS_24const_host_device_scalarIT2_EEPKiS6_PKS3_iiS8_S4_PS3_21rocsparse_index_base_b,@function
_ZN9rocsparseL22gebsrmvn_mxn_16_kernelILj60ELj12ELj4EdEEvi20rocsparse_direction_NS_24const_host_device_scalarIT2_EEPKiS6_PKS3_iiS8_S4_PS3_21rocsparse_index_base_b: ; @_ZN9rocsparseL22gebsrmvn_mxn_16_kernelILj60ELj12ELj4EdEEvi20rocsparse_direction_NS_24const_host_device_scalarIT2_EEPKiS6_PKS3_iiS8_S4_PS3_21rocsparse_index_base_b
; %bb.0:
	s_load_dwordx2 s[10:11], s[4:5], 0x48
	s_load_dwordx2 s[8:9], s[4:5], 0x8
	;; [unrolled: 1-line block ×3, first 2 shown]
	s_waitcnt lgkmcnt(0)
	s_bitcmp1_b32 s11, 0
	s_cselect_b64 s[12:13], -1, 0
	v_mov_b32_e32 v3, s8
	s_xor_b64 s[2:3], s[12:13], -1
	s_and_b64 vcc, exec, s[12:13]
	v_mov_b32_e32 v4, s9
	s_cbranch_vccnz .LBB63_2
; %bb.1:
	v_mov_b32_e32 v1, s8
	v_mov_b32_e32 v2, s9
	flat_load_dwordx2 v[3:4], v[1:2]
.LBB63_2:
	v_mov_b32_e32 v2, s1
	s_andn2_b64 vcc, exec, s[2:3]
	v_mov_b32_e32 v1, s0
	s_cbranch_vccnz .LBB63_4
; %bb.3:
	v_mov_b32_e32 v2, s1
	v_mov_b32_e32 v1, s0
	flat_load_dwordx2 v[1:2], v[1:2]
.LBB63_4:
	s_waitcnt vmcnt(0) lgkmcnt(0)
	v_cmp_neq_f64_e32 vcc, 0, v[3:4]
	v_cmp_neq_f64_e64 s[0:1], 1.0, v[1:2]
	s_or_b64 s[0:1], vcc, s[0:1]
	s_and_saveexec_b64 s[2:3], s[0:1]
	s_cbranch_execz .LBB63_33
; %bb.5:
	s_load_dword s2, s[4:5], 0x4
	s_load_dwordx2 s[0:1], s[4:5], 0x10
	v_and_b32_e32 v11, 3, v0
	v_mov_b32_e32 v12, v11
	s_waitcnt lgkmcnt(0)
	s_cmp_lg_u32 s2, 1
	s_cselect_b64 s[12:13], -1, 0
	s_and_b64 vcc, exec, s[12:13]
	s_cbranch_vccnz .LBB63_7
; %bb.6:
	v_mul_u32_u24_e32 v5, 0x1556, v0
	v_bfe_u32 v12, v5, 16, 2
.LBB63_7:
	s_ashr_i32 s7, s6, 31
	s_lshl_b64 s[2:3], s[6:7], 2
	s_add_u32 s0, s0, s2
	s_addc_u32 s1, s1, s3
	s_load_dwordx2 s[16:17], s[0:1], 0x0
	s_load_dwordx2 s[8:9], s[4:5], 0x40
	v_mov_b32_e32 v5, 0
	v_mov_b32_e32 v6, 0
	s_waitcnt lgkmcnt(0)
	s_cmp_ge_i32 s16, s17
	s_cbranch_scc1 .LBB63_12
; %bb.8:
	s_load_dwordx4 s[0:3], s[4:5], 0x18
	s_load_dwordx2 s[14:15], s[4:5], 0x30
	v_mad_u64_u32 v[5:6], s[4:5], s16, 48, v[0:1]
	s_mul_i32 s4, s10, 48
	s_sub_i32 s7, s17, s10
	v_subrev_u32_e32 v7, s4, v5
	v_mov_b32_e32 v5, 0
	s_sub_i32 s11, s16, s10
	v_mul_u32_u24_e32 v13, 0x556, v0
	v_mov_b32_e32 v6, 0
	v_mov_b32_e32 v8, 0
	s_branch .LBB63_10
.LBB63_9:                               ;   in Loop: Header=BB63_10 Depth=1
	s_or_b64 exec, exec, s[4:5]
	s_add_i32 s11, s11, 1
	s_cmp_ge_i32 s11, s7
	v_add_u32_e32 v7, 48, v7
	s_cbranch_scc1 .LBB63_12
.LBB63_10:                              ; =>This Inner Loop Header: Depth=1
	v_add_u32_sdwa v9, v13, s11 dst_sel:DWORD dst_unused:UNUSED_PAD src0_sel:WORD_1 src1_sel:DWORD
	v_cmp_gt_i32_e32 vcc, s7, v9
	s_and_saveexec_b64 s[4:5], vcc
	s_cbranch_execz .LBB63_9
; %bb.11:                               ;   in Loop: Header=BB63_10 Depth=1
	v_ashrrev_i32_e32 v10, 31, v9
	v_lshlrev_b64 v[9:10], 2, v[9:10]
	s_waitcnt lgkmcnt(0)
	v_mov_b32_e32 v14, s1
	v_add_co_u32_e32 v9, vcc, s0, v9
	v_addc_co_u32_e32 v10, vcc, v14, v10, vcc
	global_load_dword v14, v[9:10], off
	v_lshlrev_b64 v[9:10], 3, v[7:8]
	v_mov_b32_e32 v15, s3
	v_add_co_u32_e32 v9, vcc, s2, v9
	v_addc_co_u32_e32 v10, vcc, v15, v10, vcc
	v_mov_b32_e32 v16, s15
	global_load_dwordx2 v[9:10], v[9:10], off
	s_waitcnt vmcnt(1)
	v_subrev_u32_e32 v14, s10, v14
	v_lshl_or_b32 v14, v14, 2, v12
	v_ashrrev_i32_e32 v15, 31, v14
	v_lshlrev_b64 v[14:15], 3, v[14:15]
	v_add_co_u32_e32 v14, vcc, s14, v14
	v_addc_co_u32_e32 v15, vcc, v16, v15, vcc
	global_load_dwordx2 v[14:15], v[14:15], off
	s_waitcnt vmcnt(0)
	v_fma_f64 v[5:6], v[9:10], v[14:15], v[5:6]
	s_branch .LBB63_9
.LBB63_12:
	v_lshlrev_b32_e32 v9, 3, v0
	s_and_b64 vcc, exec, s[12:13]
	ds_write_b64 v9, v[5:6]
	s_waitcnt lgkmcnt(0)
	; wave barrier
	s_cbranch_vccz .LBB63_20
; %bb.13:
	v_cmp_gt_u32_e32 vcc, 2, v11
	s_and_saveexec_b64 s[0:1], vcc
	s_cbranch_execz .LBB63_15
; %bb.14:
	ds_read2_b64 v[12:15], v9 offset1:2
	s_waitcnt lgkmcnt(0)
	v_add_f64 v[7:8], v[14:15], v[12:13]
	ds_write_b64 v9, v[7:8]
.LBB63_15:
	s_or_b64 exec, exec, s[0:1]
	v_cmp_eq_u32_e32 vcc, 0, v11
	s_waitcnt lgkmcnt(0)
	; wave barrier
	s_and_saveexec_b64 s[0:1], vcc
	s_cbranch_execz .LBB63_17
; %bb.16:
	ds_read2_b64 v[10:13], v9 offset1:1
	s_waitcnt lgkmcnt(0)
	v_add_f64 v[7:8], v[12:13], v[10:11]
	ds_write_b64 v9, v[7:8]
.LBB63_17:
	s_or_b64 exec, exec, s[0:1]
	v_mov_b32_e32 v8, v6
	v_cmp_gt_u32_e32 vcc, 12, v0
	v_mov_b32_e32 v7, v5
	s_waitcnt lgkmcnt(0)
	; wave barrier
	s_and_saveexec_b64 s[0:1], vcc
; %bb.18:
	v_mad_u32_u24 v7, v0, 24, v9
	ds_read_b64 v[7:8], v7
; %bb.19:
	s_or_b64 exec, exec, s[0:1]
	s_branch .LBB63_28
.LBB63_20:
                                        ; implicit-def: $vgpr7_vgpr8
	s_cbranch_execz .LBB63_28
; %bb.21:
	v_cmp_gt_u32_e32 vcc, 24, v0
	s_and_saveexec_b64 s[0:1], vcc
	s_cbranch_execz .LBB63_23
; %bb.22:
	ds_read2_b64 v[10:13], v9 offset1:24
	s_waitcnt lgkmcnt(0)
	v_add_f64 v[7:8], v[12:13], v[10:11]
	ds_write_b64 v9, v[7:8]
.LBB63_23:
	s_or_b64 exec, exec, s[0:1]
	v_cmp_lt_u32_e32 vcc, 11, v0
	s_waitcnt lgkmcnt(0)
	s_and_saveexec_b64 s[0:1], vcc
	s_xor_b64 s[0:1], exec, s[0:1]
; %bb.24:
                                        ; implicit-def: $vgpr9
; %bb.25:
	s_andn2_saveexec_b64 s[0:1], s[0:1]
	s_cbranch_execz .LBB63_27
; %bb.26:
	ds_read2_b64 v[5:8], v9 offset1:12
	s_waitcnt lgkmcnt(0)
	v_add_f64 v[5:6], v[7:8], v[5:6]
	ds_write_b64 v9, v[5:6]
	s_waitcnt lgkmcnt(0)
	ds_read_b64 v[5:6], v9
.LBB63_27:
	s_or_b64 exec, exec, s[0:1]
	s_waitcnt lgkmcnt(0)
	v_mov_b32_e32 v8, v6
	v_mov_b32_e32 v7, v5
.LBB63_28:
	v_cmp_gt_u32_e32 vcc, 12, v0
	s_and_b64 exec, exec, vcc
	s_cbranch_execz .LBB63_33
; %bb.29:
	v_cmp_eq_f64_e32 vcc, 0, v[1:2]
	s_waitcnt lgkmcnt(0)
	v_mul_f64 v[3:4], v[3:4], v[7:8]
	s_and_saveexec_b64 s[0:1], vcc
	s_xor_b64 s[0:1], exec, s[0:1]
	s_cbranch_execz .LBB63_31
; %bb.30:
	v_mad_u64_u32 v[0:1], s[2:3], s6, 12, v[0:1]
	v_mov_b32_e32 v1, 0
	v_mov_b32_e32 v2, s9
	v_lshlrev_b64 v[0:1], 3, v[0:1]
	v_add_co_u32_e32 v0, vcc, s8, v0
	v_addc_co_u32_e32 v1, vcc, v2, v1, vcc
	global_store_dwordx2 v[0:1], v[3:4], off
                                        ; implicit-def: $vgpr0
                                        ; implicit-def: $vgpr1_vgpr2
                                        ; implicit-def: $vgpr3_vgpr4
.LBB63_31:
	s_andn2_saveexec_b64 s[0:1], s[0:1]
	s_cbranch_execz .LBB63_33
; %bb.32:
	v_mad_u64_u32 v[5:6], s[0:1], s6, 12, v[0:1]
	v_mov_b32_e32 v6, 0
	v_mov_b32_e32 v0, s9
	v_lshlrev_b64 v[5:6], 3, v[5:6]
	v_add_co_u32_e32 v5, vcc, s8, v5
	v_addc_co_u32_e32 v6, vcc, v0, v6, vcc
	global_load_dwordx2 v[7:8], v[5:6], off
	s_waitcnt vmcnt(0)
	v_fma_f64 v[0:1], v[1:2], v[7:8], v[3:4]
	global_store_dwordx2 v[5:6], v[0:1], off
.LBB63_33:
	s_endpgm
	.section	.rodata,"a",@progbits
	.p2align	6, 0x0
	.amdhsa_kernel _ZN9rocsparseL22gebsrmvn_mxn_16_kernelILj60ELj12ELj4EdEEvi20rocsparse_direction_NS_24const_host_device_scalarIT2_EEPKiS6_PKS3_iiS8_S4_PS3_21rocsparse_index_base_b
		.amdhsa_group_segment_fixed_size 384
		.amdhsa_private_segment_fixed_size 0
		.amdhsa_kernarg_size 80
		.amdhsa_user_sgpr_count 6
		.amdhsa_user_sgpr_private_segment_buffer 1
		.amdhsa_user_sgpr_dispatch_ptr 0
		.amdhsa_user_sgpr_queue_ptr 0
		.amdhsa_user_sgpr_kernarg_segment_ptr 1
		.amdhsa_user_sgpr_dispatch_id 0
		.amdhsa_user_sgpr_flat_scratch_init 0
		.amdhsa_user_sgpr_private_segment_size 0
		.amdhsa_uses_dynamic_stack 0
		.amdhsa_system_sgpr_private_segment_wavefront_offset 0
		.amdhsa_system_sgpr_workgroup_id_x 1
		.amdhsa_system_sgpr_workgroup_id_y 0
		.amdhsa_system_sgpr_workgroup_id_z 0
		.amdhsa_system_sgpr_workgroup_info 0
		.amdhsa_system_vgpr_workitem_id 0
		.amdhsa_next_free_vgpr 17
		.amdhsa_next_free_sgpr 18
		.amdhsa_reserve_vcc 1
		.amdhsa_reserve_flat_scratch 0
		.amdhsa_float_round_mode_32 0
		.amdhsa_float_round_mode_16_64 0
		.amdhsa_float_denorm_mode_32 3
		.amdhsa_float_denorm_mode_16_64 3
		.amdhsa_dx10_clamp 1
		.amdhsa_ieee_mode 1
		.amdhsa_fp16_overflow 0
		.amdhsa_exception_fp_ieee_invalid_op 0
		.amdhsa_exception_fp_denorm_src 0
		.amdhsa_exception_fp_ieee_div_zero 0
		.amdhsa_exception_fp_ieee_overflow 0
		.amdhsa_exception_fp_ieee_underflow 0
		.amdhsa_exception_fp_ieee_inexact 0
		.amdhsa_exception_int_div_zero 0
	.end_amdhsa_kernel
	.section	.text._ZN9rocsparseL22gebsrmvn_mxn_16_kernelILj60ELj12ELj4EdEEvi20rocsparse_direction_NS_24const_host_device_scalarIT2_EEPKiS6_PKS3_iiS8_S4_PS3_21rocsparse_index_base_b,"axG",@progbits,_ZN9rocsparseL22gebsrmvn_mxn_16_kernelILj60ELj12ELj4EdEEvi20rocsparse_direction_NS_24const_host_device_scalarIT2_EEPKiS6_PKS3_iiS8_S4_PS3_21rocsparse_index_base_b,comdat
.Lfunc_end63:
	.size	_ZN9rocsparseL22gebsrmvn_mxn_16_kernelILj60ELj12ELj4EdEEvi20rocsparse_direction_NS_24const_host_device_scalarIT2_EEPKiS6_PKS3_iiS8_S4_PS3_21rocsparse_index_base_b, .Lfunc_end63-_ZN9rocsparseL22gebsrmvn_mxn_16_kernelILj60ELj12ELj4EdEEvi20rocsparse_direction_NS_24const_host_device_scalarIT2_EEPKiS6_PKS3_iiS8_S4_PS3_21rocsparse_index_base_b
                                        ; -- End function
	.set _ZN9rocsparseL22gebsrmvn_mxn_16_kernelILj60ELj12ELj4EdEEvi20rocsparse_direction_NS_24const_host_device_scalarIT2_EEPKiS6_PKS3_iiS8_S4_PS3_21rocsparse_index_base_b.num_vgpr, 17
	.set _ZN9rocsparseL22gebsrmvn_mxn_16_kernelILj60ELj12ELj4EdEEvi20rocsparse_direction_NS_24const_host_device_scalarIT2_EEPKiS6_PKS3_iiS8_S4_PS3_21rocsparse_index_base_b.num_agpr, 0
	.set _ZN9rocsparseL22gebsrmvn_mxn_16_kernelILj60ELj12ELj4EdEEvi20rocsparse_direction_NS_24const_host_device_scalarIT2_EEPKiS6_PKS3_iiS8_S4_PS3_21rocsparse_index_base_b.numbered_sgpr, 18
	.set _ZN9rocsparseL22gebsrmvn_mxn_16_kernelILj60ELj12ELj4EdEEvi20rocsparse_direction_NS_24const_host_device_scalarIT2_EEPKiS6_PKS3_iiS8_S4_PS3_21rocsparse_index_base_b.num_named_barrier, 0
	.set _ZN9rocsparseL22gebsrmvn_mxn_16_kernelILj60ELj12ELj4EdEEvi20rocsparse_direction_NS_24const_host_device_scalarIT2_EEPKiS6_PKS3_iiS8_S4_PS3_21rocsparse_index_base_b.private_seg_size, 0
	.set _ZN9rocsparseL22gebsrmvn_mxn_16_kernelILj60ELj12ELj4EdEEvi20rocsparse_direction_NS_24const_host_device_scalarIT2_EEPKiS6_PKS3_iiS8_S4_PS3_21rocsparse_index_base_b.uses_vcc, 1
	.set _ZN9rocsparseL22gebsrmvn_mxn_16_kernelILj60ELj12ELj4EdEEvi20rocsparse_direction_NS_24const_host_device_scalarIT2_EEPKiS6_PKS3_iiS8_S4_PS3_21rocsparse_index_base_b.uses_flat_scratch, 0
	.set _ZN9rocsparseL22gebsrmvn_mxn_16_kernelILj60ELj12ELj4EdEEvi20rocsparse_direction_NS_24const_host_device_scalarIT2_EEPKiS6_PKS3_iiS8_S4_PS3_21rocsparse_index_base_b.has_dyn_sized_stack, 0
	.set _ZN9rocsparseL22gebsrmvn_mxn_16_kernelILj60ELj12ELj4EdEEvi20rocsparse_direction_NS_24const_host_device_scalarIT2_EEPKiS6_PKS3_iiS8_S4_PS3_21rocsparse_index_base_b.has_recursion, 0
	.set _ZN9rocsparseL22gebsrmvn_mxn_16_kernelILj60ELj12ELj4EdEEvi20rocsparse_direction_NS_24const_host_device_scalarIT2_EEPKiS6_PKS3_iiS8_S4_PS3_21rocsparse_index_base_b.has_indirect_call, 0
	.section	.AMDGPU.csdata,"",@progbits
; Kernel info:
; codeLenInByte = 916
; TotalNumSgprs: 22
; NumVgprs: 17
; ScratchSize: 0
; MemoryBound: 0
; FloatMode: 240
; IeeeMode: 1
; LDSByteSize: 384 bytes/workgroup (compile time only)
; SGPRBlocks: 2
; VGPRBlocks: 4
; NumSGPRsForWavesPerEU: 22
; NumVGPRsForWavesPerEU: 17
; Occupancy: 10
; WaveLimiterHint : 1
; COMPUTE_PGM_RSRC2:SCRATCH_EN: 0
; COMPUTE_PGM_RSRC2:USER_SGPR: 6
; COMPUTE_PGM_RSRC2:TRAP_HANDLER: 0
; COMPUTE_PGM_RSRC2:TGID_X_EN: 1
; COMPUTE_PGM_RSRC2:TGID_Y_EN: 0
; COMPUTE_PGM_RSRC2:TGID_Z_EN: 0
; COMPUTE_PGM_RSRC2:TIDIG_COMP_CNT: 0
	.section	.text._ZN9rocsparseL22gebsrmvn_mxn_16_kernelILj60ELj12ELj5EdEEvi20rocsparse_direction_NS_24const_host_device_scalarIT2_EEPKiS6_PKS3_iiS8_S4_PS3_21rocsparse_index_base_b,"axG",@progbits,_ZN9rocsparseL22gebsrmvn_mxn_16_kernelILj60ELj12ELj5EdEEvi20rocsparse_direction_NS_24const_host_device_scalarIT2_EEPKiS6_PKS3_iiS8_S4_PS3_21rocsparse_index_base_b,comdat
	.globl	_ZN9rocsparseL22gebsrmvn_mxn_16_kernelILj60ELj12ELj5EdEEvi20rocsparse_direction_NS_24const_host_device_scalarIT2_EEPKiS6_PKS3_iiS8_S4_PS3_21rocsparse_index_base_b ; -- Begin function _ZN9rocsparseL22gebsrmvn_mxn_16_kernelILj60ELj12ELj5EdEEvi20rocsparse_direction_NS_24const_host_device_scalarIT2_EEPKiS6_PKS3_iiS8_S4_PS3_21rocsparse_index_base_b
	.p2align	8
	.type	_ZN9rocsparseL22gebsrmvn_mxn_16_kernelILj60ELj12ELj5EdEEvi20rocsparse_direction_NS_24const_host_device_scalarIT2_EEPKiS6_PKS3_iiS8_S4_PS3_21rocsparse_index_base_b,@function
_ZN9rocsparseL22gebsrmvn_mxn_16_kernelILj60ELj12ELj5EdEEvi20rocsparse_direction_NS_24const_host_device_scalarIT2_EEPKiS6_PKS3_iiS8_S4_PS3_21rocsparse_index_base_b: ; @_ZN9rocsparseL22gebsrmvn_mxn_16_kernelILj60ELj12ELj5EdEEvi20rocsparse_direction_NS_24const_host_device_scalarIT2_EEPKiS6_PKS3_iiS8_S4_PS3_21rocsparse_index_base_b
; %bb.0:
	s_load_dwordx2 s[10:11], s[4:5], 0x48
	s_load_dwordx2 s[8:9], s[4:5], 0x8
	;; [unrolled: 1-line block ×3, first 2 shown]
	s_waitcnt lgkmcnt(0)
	s_bitcmp1_b32 s11, 0
	s_cselect_b64 s[12:13], -1, 0
	v_mov_b32_e32 v3, s8
	s_xor_b64 s[2:3], s[12:13], -1
	s_and_b64 vcc, exec, s[12:13]
	v_mov_b32_e32 v4, s9
	s_cbranch_vccnz .LBB64_2
; %bb.1:
	v_mov_b32_e32 v1, s8
	v_mov_b32_e32 v2, s9
	flat_load_dwordx2 v[3:4], v[1:2]
.LBB64_2:
	v_mov_b32_e32 v2, s1
	s_andn2_b64 vcc, exec, s[2:3]
	v_mov_b32_e32 v1, s0
	s_cbranch_vccnz .LBB64_4
; %bb.3:
	v_mov_b32_e32 v2, s1
	v_mov_b32_e32 v1, s0
	flat_load_dwordx2 v[1:2], v[1:2]
.LBB64_4:
	s_waitcnt vmcnt(0) lgkmcnt(0)
	v_cmp_neq_f64_e32 vcc, 0, v[3:4]
	v_cmp_neq_f64_e64 s[0:1], 1.0, v[1:2]
	s_or_b64 s[0:1], vcc, s[0:1]
	s_and_saveexec_b64 s[2:3], s[0:1]
	s_cbranch_execz .LBB64_37
; %bb.5:
	s_load_dwordx2 s[0:1], s[4:5], 0x10
	s_load_dword s2, s[4:5], 0x4
	v_mul_u32_u24_e32 v6, 0x3334, v0
	v_mov_b32_e32 v5, 5
	v_mul_lo_u16_sdwa v6, v6, v5 dst_sel:DWORD dst_unused:UNUSED_PAD src0_sel:WORD_1 src1_sel:DWORD
	v_sub_u16_e32 v12, v0, v6
	s_waitcnt lgkmcnt(0)
	s_cmp_lg_u32 s2, 1
	s_cselect_b64 s[12:13], -1, 0
	s_and_b64 vcc, exec, s[12:13]
	v_mov_b32_e32 v7, v12
	s_cbranch_vccnz .LBB64_7
; %bb.6:
	s_movk_i32 s2, 0x1556
	v_mul_u32_u24_sdwa v6, v0, s2 dst_sel:DWORD dst_unused:UNUSED_PAD src0_sel:WORD_0 src1_sel:DWORD
	v_mov_b32_e32 v7, 52
	v_mul_lo_u16_sdwa v7, v6, v7 dst_sel:DWORD dst_unused:UNUSED_PAD src0_sel:WORD_1 src1_sel:DWORD
	v_mul_lo_u16_sdwa v5, v7, v5 dst_sel:DWORD dst_unused:UNUSED_PAD src0_sel:BYTE_1 src1_sel:DWORD
	v_sub_u16_sdwa v5, v6, v5 dst_sel:DWORD dst_unused:UNUSED_PAD src0_sel:WORD_1 src1_sel:DWORD
	v_and_b32_e32 v7, 0xff, v5
.LBB64_7:
	s_ashr_i32 s7, s6, 31
	s_lshl_b64 s[2:3], s[6:7], 2
	s_add_u32 s0, s0, s2
	s_addc_u32 s1, s1, s3
	s_load_dwordx2 s[16:17], s[0:1], 0x0
	s_load_dwordx2 s[8:9], s[4:5], 0x40
	v_mov_b32_e32 v5, 0
	v_mov_b32_e32 v6, 0
	s_waitcnt lgkmcnt(0)
	s_cmp_ge_i32 s16, s17
	s_cbranch_scc1 .LBB64_12
; %bb.8:
	s_load_dwordx4 s[0:3], s[4:5], 0x18
	s_load_dwordx2 s[14:15], s[4:5], 0x30
	v_mad_u64_u32 v[5:6], s[4:5], s16, 60, v[0:1]
	s_movk_i32 s4, 0x445
	v_mul_u32_u24_sdwa v13, v0, s4 dst_sel:DWORD dst_unused:UNUSED_PAD src0_sel:WORD_0 src1_sel:DWORD
	s_mul_i32 s4, s10, 60
	v_subrev_u32_e32 v8, s4, v5
	v_mov_b32_e32 v5, 0
	s_sub_i32 s7, s17, s10
	s_sub_i32 s11, s16, s10
	v_mov_b32_e32 v6, 0
	v_mov_b32_e32 v9, 0
	s_branch .LBB64_10
.LBB64_9:                               ;   in Loop: Header=BB64_10 Depth=1
	s_or_b64 exec, exec, s[4:5]
	s_add_i32 s11, s11, 1
	s_cmp_ge_i32 s11, s7
	v_add_u32_e32 v8, 60, v8
	s_cbranch_scc1 .LBB64_12
.LBB64_10:                              ; =>This Inner Loop Header: Depth=1
	v_add_u32_sdwa v10, v13, s11 dst_sel:DWORD dst_unused:UNUSED_PAD src0_sel:WORD_1 src1_sel:DWORD
	v_cmp_gt_i32_e32 vcc, s7, v10
	s_and_saveexec_b64 s[4:5], vcc
	s_cbranch_execz .LBB64_9
; %bb.11:                               ;   in Loop: Header=BB64_10 Depth=1
	v_ashrrev_i32_e32 v11, 31, v10
	v_lshlrev_b64 v[10:11], 2, v[10:11]
	s_waitcnt lgkmcnt(0)
	v_mov_b32_e32 v14, s1
	v_add_co_u32_e32 v10, vcc, s0, v10
	v_addc_co_u32_e32 v11, vcc, v14, v11, vcc
	global_load_dword v14, v[10:11], off
	v_lshlrev_b64 v[10:11], 3, v[8:9]
	v_mov_b32_e32 v16, s3
	v_add_co_u32_e32 v10, vcc, s2, v10
	v_addc_co_u32_e32 v11, vcc, v16, v11, vcc
	v_mov_b32_e32 v17, s15
	global_load_dwordx2 v[10:11], v[10:11], off
	s_waitcnt vmcnt(1)
	v_subrev_u32_e32 v14, s10, v14
	v_mad_u64_u32 v[14:15], s[16:17], v14, 5, v[7:8]
	v_ashrrev_i32_e32 v15, 31, v14
	v_lshlrev_b64 v[14:15], 3, v[14:15]
	v_add_co_u32_e32 v14, vcc, s14, v14
	v_addc_co_u32_e32 v15, vcc, v17, v15, vcc
	global_load_dwordx2 v[14:15], v[14:15], off
	s_waitcnt vmcnt(0)
	v_fma_f64 v[5:6], v[10:11], v[14:15], v[5:6]
	s_branch .LBB64_9
.LBB64_12:
	v_lshlrev_b32_e32 v9, 3, v0
	s_and_b64 vcc, exec, s[12:13]
	ds_write_b64 v9, v[5:6]
	s_waitcnt lgkmcnt(0)
	; wave barrier
	s_cbranch_vccz .LBB64_22
; %bb.13:
	v_cmp_eq_u16_e32 vcc, 0, v12
	s_and_saveexec_b64 s[0:1], vcc
	s_cbranch_execz .LBB64_15
; %bb.14:
	ds_read2_b64 v[13:16], v9 offset1:4
	s_waitcnt lgkmcnt(0)
	v_add_f64 v[7:8], v[15:16], v[13:14]
	ds_write_b64 v9, v[7:8]
.LBB64_15:
	s_or_b64 exec, exec, s[0:1]
	v_cmp_gt_u16_e64 s[0:1], 2, v12
	s_waitcnt lgkmcnt(0)
	; wave barrier
	s_and_saveexec_b64 s[2:3], s[0:1]
	s_cbranch_execz .LBB64_17
; %bb.16:
	ds_read2_b64 v[10:13], v9 offset1:2
	s_waitcnt lgkmcnt(0)
	v_add_f64 v[7:8], v[12:13], v[10:11]
	ds_write_b64 v9, v[7:8]
.LBB64_17:
	s_or_b64 exec, exec, s[2:3]
	s_waitcnt lgkmcnt(0)
	; wave barrier
	s_and_saveexec_b64 s[0:1], vcc
	s_cbranch_execz .LBB64_19
; %bb.18:
	ds_read2_b64 v[10:13], v9 offset1:1
	s_waitcnt lgkmcnt(0)
	v_add_f64 v[7:8], v[12:13], v[10:11]
	ds_write_b64 v9, v[7:8]
.LBB64_19:
	s_or_b64 exec, exec, s[0:1]
	v_mov_b32_e32 v8, v6
	v_cmp_gt_u32_e32 vcc, 12, v0
	v_mov_b32_e32 v7, v5
	s_waitcnt lgkmcnt(0)
	; wave barrier
	s_and_saveexec_b64 s[0:1], vcc
; %bb.20:
	v_lshl_add_u32 v7, v0, 5, v9
	ds_read_b64 v[7:8], v7
; %bb.21:
	s_or_b64 exec, exec, s[0:1]
	v_cmp_gt_u32_e64 s[0:1], 12, v0
	s_branch .LBB64_32
.LBB64_22:
                                        ; implicit-def: $vgpr7_vgpr8
	v_cmp_gt_u32_e64 s[0:1], 12, v0
	s_cbranch_execz .LBB64_32
; %bb.23:
	v_cmp_lt_u32_e32 vcc, 11, v0
	s_and_saveexec_b64 s[2:3], s[0:1]
	s_cbranch_execz .LBB64_25
; %bb.24:
	ds_read2_b64 v[10:13], v9 offset1:48
	s_waitcnt lgkmcnt(0)
	v_add_f64 v[7:8], v[12:13], v[10:11]
	ds_write_b64 v9, v[7:8]
.LBB64_25:
	s_or_b64 exec, exec, s[2:3]
	v_cmp_gt_u32_e64 s[0:1], 24, v0
	s_waitcnt lgkmcnt(0)
	; wave barrier
	s_and_saveexec_b64 s[2:3], s[0:1]
	s_cbranch_execz .LBB64_27
; %bb.26:
	ds_read2_b64 v[10:13], v9 offset1:24
	s_waitcnt lgkmcnt(0)
	v_add_f64 v[7:8], v[12:13], v[10:11]
	ds_write_b64 v9, v[7:8]
.LBB64_27:
	s_or_b64 exec, exec, s[2:3]
	s_waitcnt lgkmcnt(0)
	s_and_saveexec_b64 s[0:1], vcc
	s_xor_b64 s[0:1], exec, s[0:1]
; %bb.28:
                                        ; implicit-def: $vgpr9
; %bb.29:
	s_andn2_saveexec_b64 s[0:1], s[0:1]
	s_cbranch_execz .LBB64_31
; %bb.30:
	ds_read2_b64 v[5:8], v9 offset1:12
	s_waitcnt lgkmcnt(0)
	v_add_f64 v[5:6], v[7:8], v[5:6]
	ds_write_b64 v9, v[5:6]
	s_waitcnt lgkmcnt(0)
	ds_read_b64 v[5:6], v9
.LBB64_31:
	s_or_b64 exec, exec, s[0:1]
	s_waitcnt lgkmcnt(0)
	v_mov_b32_e32 v8, v6
	v_mov_b32_e32 v7, v5
.LBB64_32:
	v_cmp_gt_u32_e32 vcc, 12, v0
	s_and_b64 exec, exec, vcc
	s_cbranch_execz .LBB64_37
; %bb.33:
	v_cmp_eq_f64_e32 vcc, 0, v[1:2]
	s_waitcnt lgkmcnt(0)
	v_mul_f64 v[3:4], v[3:4], v[7:8]
	s_and_saveexec_b64 s[0:1], vcc
	s_xor_b64 s[0:1], exec, s[0:1]
	s_cbranch_execz .LBB64_35
; %bb.34:
	v_mad_u64_u32 v[0:1], s[2:3], s6, 12, v[0:1]
	v_mov_b32_e32 v1, 0
	v_mov_b32_e32 v2, s9
	v_lshlrev_b64 v[0:1], 3, v[0:1]
	v_add_co_u32_e32 v0, vcc, s8, v0
	v_addc_co_u32_e32 v1, vcc, v2, v1, vcc
	global_store_dwordx2 v[0:1], v[3:4], off
                                        ; implicit-def: $vgpr0
                                        ; implicit-def: $vgpr1_vgpr2
                                        ; implicit-def: $vgpr3_vgpr4
.LBB64_35:
	s_andn2_saveexec_b64 s[0:1], s[0:1]
	s_cbranch_execz .LBB64_37
; %bb.36:
	v_mad_u64_u32 v[5:6], s[0:1], s6, 12, v[0:1]
	v_mov_b32_e32 v6, 0
	v_mov_b32_e32 v0, s9
	v_lshlrev_b64 v[5:6], 3, v[5:6]
	v_add_co_u32_e32 v5, vcc, s8, v5
	v_addc_co_u32_e32 v6, vcc, v0, v6, vcc
	global_load_dwordx2 v[7:8], v[5:6], off
	s_waitcnt vmcnt(0)
	v_fma_f64 v[0:1], v[1:2], v[7:8], v[3:4]
	global_store_dwordx2 v[5:6], v[0:1], off
.LBB64_37:
	s_endpgm
	.section	.rodata,"a",@progbits
	.p2align	6, 0x0
	.amdhsa_kernel _ZN9rocsparseL22gebsrmvn_mxn_16_kernelILj60ELj12ELj5EdEEvi20rocsparse_direction_NS_24const_host_device_scalarIT2_EEPKiS6_PKS3_iiS8_S4_PS3_21rocsparse_index_base_b
		.amdhsa_group_segment_fixed_size 480
		.amdhsa_private_segment_fixed_size 0
		.amdhsa_kernarg_size 80
		.amdhsa_user_sgpr_count 6
		.amdhsa_user_sgpr_private_segment_buffer 1
		.amdhsa_user_sgpr_dispatch_ptr 0
		.amdhsa_user_sgpr_queue_ptr 0
		.amdhsa_user_sgpr_kernarg_segment_ptr 1
		.amdhsa_user_sgpr_dispatch_id 0
		.amdhsa_user_sgpr_flat_scratch_init 0
		.amdhsa_user_sgpr_private_segment_size 0
		.amdhsa_uses_dynamic_stack 0
		.amdhsa_system_sgpr_private_segment_wavefront_offset 0
		.amdhsa_system_sgpr_workgroup_id_x 1
		.amdhsa_system_sgpr_workgroup_id_y 0
		.amdhsa_system_sgpr_workgroup_id_z 0
		.amdhsa_system_sgpr_workgroup_info 0
		.amdhsa_system_vgpr_workitem_id 0
		.amdhsa_next_free_vgpr 18
		.amdhsa_next_free_sgpr 18
		.amdhsa_reserve_vcc 1
		.amdhsa_reserve_flat_scratch 0
		.amdhsa_float_round_mode_32 0
		.amdhsa_float_round_mode_16_64 0
		.amdhsa_float_denorm_mode_32 3
		.amdhsa_float_denorm_mode_16_64 3
		.amdhsa_dx10_clamp 1
		.amdhsa_ieee_mode 1
		.amdhsa_fp16_overflow 0
		.amdhsa_exception_fp_ieee_invalid_op 0
		.amdhsa_exception_fp_denorm_src 0
		.amdhsa_exception_fp_ieee_div_zero 0
		.amdhsa_exception_fp_ieee_overflow 0
		.amdhsa_exception_fp_ieee_underflow 0
		.amdhsa_exception_fp_ieee_inexact 0
		.amdhsa_exception_int_div_zero 0
	.end_amdhsa_kernel
	.section	.text._ZN9rocsparseL22gebsrmvn_mxn_16_kernelILj60ELj12ELj5EdEEvi20rocsparse_direction_NS_24const_host_device_scalarIT2_EEPKiS6_PKS3_iiS8_S4_PS3_21rocsparse_index_base_b,"axG",@progbits,_ZN9rocsparseL22gebsrmvn_mxn_16_kernelILj60ELj12ELj5EdEEvi20rocsparse_direction_NS_24const_host_device_scalarIT2_EEPKiS6_PKS3_iiS8_S4_PS3_21rocsparse_index_base_b,comdat
.Lfunc_end64:
	.size	_ZN9rocsparseL22gebsrmvn_mxn_16_kernelILj60ELj12ELj5EdEEvi20rocsparse_direction_NS_24const_host_device_scalarIT2_EEPKiS6_PKS3_iiS8_S4_PS3_21rocsparse_index_base_b, .Lfunc_end64-_ZN9rocsparseL22gebsrmvn_mxn_16_kernelILj60ELj12ELj5EdEEvi20rocsparse_direction_NS_24const_host_device_scalarIT2_EEPKiS6_PKS3_iiS8_S4_PS3_21rocsparse_index_base_b
                                        ; -- End function
	.set _ZN9rocsparseL22gebsrmvn_mxn_16_kernelILj60ELj12ELj5EdEEvi20rocsparse_direction_NS_24const_host_device_scalarIT2_EEPKiS6_PKS3_iiS8_S4_PS3_21rocsparse_index_base_b.num_vgpr, 18
	.set _ZN9rocsparseL22gebsrmvn_mxn_16_kernelILj60ELj12ELj5EdEEvi20rocsparse_direction_NS_24const_host_device_scalarIT2_EEPKiS6_PKS3_iiS8_S4_PS3_21rocsparse_index_base_b.num_agpr, 0
	.set _ZN9rocsparseL22gebsrmvn_mxn_16_kernelILj60ELj12ELj5EdEEvi20rocsparse_direction_NS_24const_host_device_scalarIT2_EEPKiS6_PKS3_iiS8_S4_PS3_21rocsparse_index_base_b.numbered_sgpr, 18
	.set _ZN9rocsparseL22gebsrmvn_mxn_16_kernelILj60ELj12ELj5EdEEvi20rocsparse_direction_NS_24const_host_device_scalarIT2_EEPKiS6_PKS3_iiS8_S4_PS3_21rocsparse_index_base_b.num_named_barrier, 0
	.set _ZN9rocsparseL22gebsrmvn_mxn_16_kernelILj60ELj12ELj5EdEEvi20rocsparse_direction_NS_24const_host_device_scalarIT2_EEPKiS6_PKS3_iiS8_S4_PS3_21rocsparse_index_base_b.private_seg_size, 0
	.set _ZN9rocsparseL22gebsrmvn_mxn_16_kernelILj60ELj12ELj5EdEEvi20rocsparse_direction_NS_24const_host_device_scalarIT2_EEPKiS6_PKS3_iiS8_S4_PS3_21rocsparse_index_base_b.uses_vcc, 1
	.set _ZN9rocsparseL22gebsrmvn_mxn_16_kernelILj60ELj12ELj5EdEEvi20rocsparse_direction_NS_24const_host_device_scalarIT2_EEPKiS6_PKS3_iiS8_S4_PS3_21rocsparse_index_base_b.uses_flat_scratch, 0
	.set _ZN9rocsparseL22gebsrmvn_mxn_16_kernelILj60ELj12ELj5EdEEvi20rocsparse_direction_NS_24const_host_device_scalarIT2_EEPKiS6_PKS3_iiS8_S4_PS3_21rocsparse_index_base_b.has_dyn_sized_stack, 0
	.set _ZN9rocsparseL22gebsrmvn_mxn_16_kernelILj60ELj12ELj5EdEEvi20rocsparse_direction_NS_24const_host_device_scalarIT2_EEPKiS6_PKS3_iiS8_S4_PS3_21rocsparse_index_base_b.has_recursion, 0
	.set _ZN9rocsparseL22gebsrmvn_mxn_16_kernelILj60ELj12ELj5EdEEvi20rocsparse_direction_NS_24const_host_device_scalarIT2_EEPKiS6_PKS3_iiS8_S4_PS3_21rocsparse_index_base_b.has_indirect_call, 0
	.section	.AMDGPU.csdata,"",@progbits
; Kernel info:
; codeLenInByte = 1084
; TotalNumSgprs: 22
; NumVgprs: 18
; ScratchSize: 0
; MemoryBound: 0
; FloatMode: 240
; IeeeMode: 1
; LDSByteSize: 480 bytes/workgroup (compile time only)
; SGPRBlocks: 2
; VGPRBlocks: 4
; NumSGPRsForWavesPerEU: 22
; NumVGPRsForWavesPerEU: 18
; Occupancy: 10
; WaveLimiterHint : 1
; COMPUTE_PGM_RSRC2:SCRATCH_EN: 0
; COMPUTE_PGM_RSRC2:USER_SGPR: 6
; COMPUTE_PGM_RSRC2:TRAP_HANDLER: 0
; COMPUTE_PGM_RSRC2:TGID_X_EN: 1
; COMPUTE_PGM_RSRC2:TGID_Y_EN: 0
; COMPUTE_PGM_RSRC2:TGID_Z_EN: 0
; COMPUTE_PGM_RSRC2:TIDIG_COMP_CNT: 0
	.section	.text._ZN9rocsparseL22gebsrmvn_mxn_16_kernelILj72ELj12ELj6EdEEvi20rocsparse_direction_NS_24const_host_device_scalarIT2_EEPKiS6_PKS3_iiS8_S4_PS3_21rocsparse_index_base_b,"axG",@progbits,_ZN9rocsparseL22gebsrmvn_mxn_16_kernelILj72ELj12ELj6EdEEvi20rocsparse_direction_NS_24const_host_device_scalarIT2_EEPKiS6_PKS3_iiS8_S4_PS3_21rocsparse_index_base_b,comdat
	.globl	_ZN9rocsparseL22gebsrmvn_mxn_16_kernelILj72ELj12ELj6EdEEvi20rocsparse_direction_NS_24const_host_device_scalarIT2_EEPKiS6_PKS3_iiS8_S4_PS3_21rocsparse_index_base_b ; -- Begin function _ZN9rocsparseL22gebsrmvn_mxn_16_kernelILj72ELj12ELj6EdEEvi20rocsparse_direction_NS_24const_host_device_scalarIT2_EEPKiS6_PKS3_iiS8_S4_PS3_21rocsparse_index_base_b
	.p2align	8
	.type	_ZN9rocsparseL22gebsrmvn_mxn_16_kernelILj72ELj12ELj6EdEEvi20rocsparse_direction_NS_24const_host_device_scalarIT2_EEPKiS6_PKS3_iiS8_S4_PS3_21rocsparse_index_base_b,@function
_ZN9rocsparseL22gebsrmvn_mxn_16_kernelILj72ELj12ELj6EdEEvi20rocsparse_direction_NS_24const_host_device_scalarIT2_EEPKiS6_PKS3_iiS8_S4_PS3_21rocsparse_index_base_b: ; @_ZN9rocsparseL22gebsrmvn_mxn_16_kernelILj72ELj12ELj6EdEEvi20rocsparse_direction_NS_24const_host_device_scalarIT2_EEPKiS6_PKS3_iiS8_S4_PS3_21rocsparse_index_base_b
; %bb.0:
	s_load_dwordx2 s[10:11], s[4:5], 0x48
	s_load_dwordx2 s[8:9], s[4:5], 0x8
	;; [unrolled: 1-line block ×3, first 2 shown]
	s_waitcnt lgkmcnt(0)
	s_bitcmp1_b32 s11, 0
	s_cselect_b64 s[12:13], -1, 0
	v_mov_b32_e32 v3, s8
	s_xor_b64 s[2:3], s[12:13], -1
	s_and_b64 vcc, exec, s[12:13]
	v_mov_b32_e32 v4, s9
	s_cbranch_vccnz .LBB65_2
; %bb.1:
	v_mov_b32_e32 v1, s8
	v_mov_b32_e32 v2, s9
	flat_load_dwordx2 v[3:4], v[1:2]
.LBB65_2:
	v_mov_b32_e32 v2, s1
	s_andn2_b64 vcc, exec, s[2:3]
	v_mov_b32_e32 v1, s0
	s_cbranch_vccnz .LBB65_4
; %bb.3:
	v_mov_b32_e32 v2, s1
	v_mov_b32_e32 v1, s0
	flat_load_dwordx2 v[1:2], v[1:2]
.LBB65_4:
	s_waitcnt vmcnt(0) lgkmcnt(0)
	v_cmp_neq_f64_e32 vcc, 0, v[3:4]
	v_cmp_neq_f64_e64 s[0:1], 1.0, v[1:2]
	s_or_b64 s[0:1], vcc, s[0:1]
	s_and_saveexec_b64 s[2:3], s[0:1]
	s_cbranch_execz .LBB65_37
; %bb.5:
	s_load_dwordx2 s[0:1], s[4:5], 0x10
	s_load_dword s2, s[4:5], 0x4
	v_mul_u32_u24_e32 v6, 0x2aab, v0
	v_mov_b32_e32 v5, 6
	v_mul_lo_u16_sdwa v6, v6, v5 dst_sel:DWORD dst_unused:UNUSED_PAD src0_sel:WORD_1 src1_sel:DWORD
	v_sub_u16_e32 v12, v0, v6
	s_waitcnt lgkmcnt(0)
	s_cmp_lg_u32 s2, 1
	s_cselect_b64 s[12:13], -1, 0
	s_and_b64 vcc, exec, s[12:13]
	v_mov_b32_e32 v7, v12
	s_cbranch_vccnz .LBB65_7
; %bb.6:
	s_movk_i32 s2, 0x1556
	v_mul_u32_u24_sdwa v6, v0, s2 dst_sel:DWORD dst_unused:UNUSED_PAD src0_sel:WORD_0 src1_sel:DWORD
	v_mov_b32_e32 v7, 43
	v_mul_lo_u16_sdwa v7, v6, v7 dst_sel:DWORD dst_unused:UNUSED_PAD src0_sel:WORD_1 src1_sel:DWORD
	v_mul_lo_u16_sdwa v5, v7, v5 dst_sel:DWORD dst_unused:UNUSED_PAD src0_sel:BYTE_1 src1_sel:DWORD
	v_sub_u16_sdwa v5, v6, v5 dst_sel:DWORD dst_unused:UNUSED_PAD src0_sel:WORD_1 src1_sel:DWORD
	v_and_b32_e32 v7, 0xff, v5
.LBB65_7:
	s_ashr_i32 s7, s6, 31
	s_lshl_b64 s[2:3], s[6:7], 2
	s_add_u32 s0, s0, s2
	s_addc_u32 s1, s1, s3
	s_load_dwordx2 s[16:17], s[0:1], 0x0
	s_load_dwordx2 s[8:9], s[4:5], 0x40
	v_mov_b32_e32 v5, 0
	v_mov_b32_e32 v6, 0
	s_waitcnt lgkmcnt(0)
	s_cmp_ge_i32 s16, s17
	s_cbranch_scc1 .LBB65_12
; %bb.8:
	s_load_dwordx4 s[0:3], s[4:5], 0x18
	s_load_dwordx2 s[14:15], s[4:5], 0x30
	s_movk_i32 s4, 0x38f
	v_mul_u32_u24_sdwa v13, v0, s4 dst_sel:DWORD dst_unused:UNUSED_PAD src0_sel:WORD_0 src1_sel:DWORD
	s_mul_i32 s4, s16, 0x48
	v_add_u32_e32 v5, s4, v0
	s_mul_i32 s4, s10, 0x48
	v_subrev_u32_e32 v8, s4, v5
	v_mov_b32_e32 v5, 0
	s_sub_i32 s7, s17, s10
	s_sub_i32 s11, s16, s10
	v_mov_b32_e32 v6, 0
	v_mov_b32_e32 v9, 0
	s_branch .LBB65_10
.LBB65_9:                               ;   in Loop: Header=BB65_10 Depth=1
	s_or_b64 exec, exec, s[4:5]
	s_add_i32 s11, s11, 1
	s_cmp_ge_i32 s11, s7
	v_add_u32_e32 v8, 0x48, v8
	s_cbranch_scc1 .LBB65_12
.LBB65_10:                              ; =>This Inner Loop Header: Depth=1
	v_add_u32_sdwa v10, v13, s11 dst_sel:DWORD dst_unused:UNUSED_PAD src0_sel:WORD_1 src1_sel:DWORD
	v_cmp_gt_i32_e32 vcc, s7, v10
	s_and_saveexec_b64 s[4:5], vcc
	s_cbranch_execz .LBB65_9
; %bb.11:                               ;   in Loop: Header=BB65_10 Depth=1
	v_ashrrev_i32_e32 v11, 31, v10
	v_lshlrev_b64 v[10:11], 2, v[10:11]
	s_waitcnt lgkmcnt(0)
	v_mov_b32_e32 v14, s1
	v_add_co_u32_e32 v10, vcc, s0, v10
	v_addc_co_u32_e32 v11, vcc, v14, v11, vcc
	global_load_dword v14, v[10:11], off
	v_lshlrev_b64 v[10:11], 3, v[8:9]
	v_mov_b32_e32 v16, s3
	v_add_co_u32_e32 v10, vcc, s2, v10
	v_addc_co_u32_e32 v11, vcc, v16, v11, vcc
	v_mov_b32_e32 v17, s15
	global_load_dwordx2 v[10:11], v[10:11], off
	s_waitcnt vmcnt(1)
	v_subrev_u32_e32 v14, s10, v14
	v_mad_u64_u32 v[14:15], s[16:17], v14, 6, v[7:8]
	v_ashrrev_i32_e32 v15, 31, v14
	v_lshlrev_b64 v[14:15], 3, v[14:15]
	v_add_co_u32_e32 v14, vcc, s14, v14
	v_addc_co_u32_e32 v15, vcc, v17, v15, vcc
	global_load_dwordx2 v[14:15], v[14:15], off
	s_waitcnt vmcnt(0)
	v_fma_f64 v[5:6], v[10:11], v[14:15], v[5:6]
	s_branch .LBB65_9
.LBB65_12:
	v_lshlrev_b32_e32 v9, 3, v0
	s_and_b64 vcc, exec, s[12:13]
	ds_write_b64 v9, v[5:6]
	s_waitcnt lgkmcnt(0)
	s_barrier
	s_cbranch_vccz .LBB65_22
; %bb.13:
	v_cmp_gt_u16_e32 vcc, 2, v12
	s_and_saveexec_b64 s[0:1], vcc
	s_cbranch_execz .LBB65_15
; %bb.14:
	ds_read2_b64 v[13:16], v9 offset1:4
	s_waitcnt lgkmcnt(0)
	v_add_f64 v[7:8], v[15:16], v[13:14]
	ds_write_b64 v9, v[7:8]
.LBB65_15:
	s_or_b64 exec, exec, s[0:1]
	s_waitcnt lgkmcnt(0)
	s_barrier
	s_and_saveexec_b64 s[0:1], vcc
	s_cbranch_execz .LBB65_17
; %bb.16:
	ds_read2_b64 v[13:16], v9 offset1:2
	s_waitcnt lgkmcnt(0)
	v_add_f64 v[7:8], v[15:16], v[13:14]
	ds_write_b64 v9, v[7:8]
.LBB65_17:
	s_or_b64 exec, exec, s[0:1]
	v_cmp_eq_u16_e32 vcc, 0, v12
	s_waitcnt lgkmcnt(0)
	s_barrier
	s_and_saveexec_b64 s[0:1], vcc
	s_cbranch_execz .LBB65_19
; %bb.18:
	ds_read2_b64 v[10:13], v9 offset1:1
	s_waitcnt lgkmcnt(0)
	v_add_f64 v[7:8], v[12:13], v[10:11]
	ds_write_b64 v9, v[7:8]
.LBB65_19:
	s_or_b64 exec, exec, s[0:1]
	v_mov_b32_e32 v8, v6
	v_cmp_gt_u32_e32 vcc, 12, v0
	v_mov_b32_e32 v7, v5
	s_waitcnt lgkmcnt(0)
	s_barrier
	s_and_saveexec_b64 s[0:1], vcc
; %bb.20:
	v_mad_u32_u24 v7, v0, 40, v9
	ds_read_b64 v[7:8], v7
; %bb.21:
	s_or_b64 exec, exec, s[0:1]
	s_branch .LBB65_32
.LBB65_22:
                                        ; implicit-def: $vgpr7_vgpr8
	s_cbranch_execz .LBB65_32
; %bb.23:
	v_cmp_gt_u32_e32 vcc, 24, v0
	s_and_saveexec_b64 s[0:1], vcc
	s_cbranch_execz .LBB65_25
; %bb.24:
	ds_read2_b64 v[10:13], v9 offset1:48
	s_waitcnt lgkmcnt(0)
	v_add_f64 v[7:8], v[12:13], v[10:11]
	ds_write_b64 v9, v[7:8]
.LBB65_25:
	s_or_b64 exec, exec, s[0:1]
	s_waitcnt lgkmcnt(0)
	s_barrier
	s_and_saveexec_b64 s[0:1], vcc
	s_cbranch_execz .LBB65_27
; %bb.26:
	ds_read2_b64 v[10:13], v9 offset1:24
	s_waitcnt lgkmcnt(0)
	v_add_f64 v[7:8], v[12:13], v[10:11]
	ds_write_b64 v9, v[7:8]
.LBB65_27:
	s_or_b64 exec, exec, s[0:1]
	v_cmp_lt_u32_e32 vcc, 11, v0
	s_waitcnt lgkmcnt(0)
	s_and_saveexec_b64 s[0:1], vcc
	s_xor_b64 s[0:1], exec, s[0:1]
; %bb.28:
                                        ; implicit-def: $vgpr9
; %bb.29:
	s_andn2_saveexec_b64 s[0:1], s[0:1]
	s_cbranch_execz .LBB65_31
; %bb.30:
	ds_read2_b64 v[5:8], v9 offset1:12
	s_waitcnt lgkmcnt(0)
	v_add_f64 v[5:6], v[7:8], v[5:6]
	ds_write_b64 v9, v[5:6]
	s_waitcnt lgkmcnt(0)
	ds_read_b64 v[5:6], v9
.LBB65_31:
	s_or_b64 exec, exec, s[0:1]
	s_waitcnt lgkmcnt(0)
	v_mov_b32_e32 v8, v6
	v_mov_b32_e32 v7, v5
.LBB65_32:
	v_cmp_gt_u32_e32 vcc, 12, v0
	s_and_b64 exec, exec, vcc
	s_cbranch_execz .LBB65_37
; %bb.33:
	v_cmp_eq_f64_e32 vcc, 0, v[1:2]
	s_waitcnt lgkmcnt(0)
	v_mul_f64 v[3:4], v[3:4], v[7:8]
	s_and_saveexec_b64 s[0:1], vcc
	s_xor_b64 s[0:1], exec, s[0:1]
	s_cbranch_execz .LBB65_35
; %bb.34:
	v_mad_u64_u32 v[0:1], s[2:3], s6, 12, v[0:1]
	v_mov_b32_e32 v1, 0
	v_mov_b32_e32 v2, s9
	v_lshlrev_b64 v[0:1], 3, v[0:1]
	v_add_co_u32_e32 v0, vcc, s8, v0
	v_addc_co_u32_e32 v1, vcc, v2, v1, vcc
	global_store_dwordx2 v[0:1], v[3:4], off
                                        ; implicit-def: $vgpr0
                                        ; implicit-def: $vgpr1_vgpr2
                                        ; implicit-def: $vgpr3_vgpr4
.LBB65_35:
	s_andn2_saveexec_b64 s[0:1], s[0:1]
	s_cbranch_execz .LBB65_37
; %bb.36:
	v_mad_u64_u32 v[5:6], s[0:1], s6, 12, v[0:1]
	v_mov_b32_e32 v6, 0
	v_mov_b32_e32 v0, s9
	v_lshlrev_b64 v[5:6], 3, v[5:6]
	v_add_co_u32_e32 v5, vcc, s8, v5
	v_addc_co_u32_e32 v6, vcc, v0, v6, vcc
	global_load_dwordx2 v[7:8], v[5:6], off
	s_waitcnt vmcnt(0)
	v_fma_f64 v[0:1], v[1:2], v[7:8], v[3:4]
	global_store_dwordx2 v[5:6], v[0:1], off
.LBB65_37:
	s_endpgm
	.section	.rodata,"a",@progbits
	.p2align	6, 0x0
	.amdhsa_kernel _ZN9rocsparseL22gebsrmvn_mxn_16_kernelILj72ELj12ELj6EdEEvi20rocsparse_direction_NS_24const_host_device_scalarIT2_EEPKiS6_PKS3_iiS8_S4_PS3_21rocsparse_index_base_b
		.amdhsa_group_segment_fixed_size 576
		.amdhsa_private_segment_fixed_size 0
		.amdhsa_kernarg_size 80
		.amdhsa_user_sgpr_count 6
		.amdhsa_user_sgpr_private_segment_buffer 1
		.amdhsa_user_sgpr_dispatch_ptr 0
		.amdhsa_user_sgpr_queue_ptr 0
		.amdhsa_user_sgpr_kernarg_segment_ptr 1
		.amdhsa_user_sgpr_dispatch_id 0
		.amdhsa_user_sgpr_flat_scratch_init 0
		.amdhsa_user_sgpr_private_segment_size 0
		.amdhsa_uses_dynamic_stack 0
		.amdhsa_system_sgpr_private_segment_wavefront_offset 0
		.amdhsa_system_sgpr_workgroup_id_x 1
		.amdhsa_system_sgpr_workgroup_id_y 0
		.amdhsa_system_sgpr_workgroup_id_z 0
		.amdhsa_system_sgpr_workgroup_info 0
		.amdhsa_system_vgpr_workitem_id 0
		.amdhsa_next_free_vgpr 18
		.amdhsa_next_free_sgpr 18
		.amdhsa_reserve_vcc 1
		.amdhsa_reserve_flat_scratch 0
		.amdhsa_float_round_mode_32 0
		.amdhsa_float_round_mode_16_64 0
		.amdhsa_float_denorm_mode_32 3
		.amdhsa_float_denorm_mode_16_64 3
		.amdhsa_dx10_clamp 1
		.amdhsa_ieee_mode 1
		.amdhsa_fp16_overflow 0
		.amdhsa_exception_fp_ieee_invalid_op 0
		.amdhsa_exception_fp_denorm_src 0
		.amdhsa_exception_fp_ieee_div_zero 0
		.amdhsa_exception_fp_ieee_overflow 0
		.amdhsa_exception_fp_ieee_underflow 0
		.amdhsa_exception_fp_ieee_inexact 0
		.amdhsa_exception_int_div_zero 0
	.end_amdhsa_kernel
	.section	.text._ZN9rocsparseL22gebsrmvn_mxn_16_kernelILj72ELj12ELj6EdEEvi20rocsparse_direction_NS_24const_host_device_scalarIT2_EEPKiS6_PKS3_iiS8_S4_PS3_21rocsparse_index_base_b,"axG",@progbits,_ZN9rocsparseL22gebsrmvn_mxn_16_kernelILj72ELj12ELj6EdEEvi20rocsparse_direction_NS_24const_host_device_scalarIT2_EEPKiS6_PKS3_iiS8_S4_PS3_21rocsparse_index_base_b,comdat
.Lfunc_end65:
	.size	_ZN9rocsparseL22gebsrmvn_mxn_16_kernelILj72ELj12ELj6EdEEvi20rocsparse_direction_NS_24const_host_device_scalarIT2_EEPKiS6_PKS3_iiS8_S4_PS3_21rocsparse_index_base_b, .Lfunc_end65-_ZN9rocsparseL22gebsrmvn_mxn_16_kernelILj72ELj12ELj6EdEEvi20rocsparse_direction_NS_24const_host_device_scalarIT2_EEPKiS6_PKS3_iiS8_S4_PS3_21rocsparse_index_base_b
                                        ; -- End function
	.set _ZN9rocsparseL22gebsrmvn_mxn_16_kernelILj72ELj12ELj6EdEEvi20rocsparse_direction_NS_24const_host_device_scalarIT2_EEPKiS6_PKS3_iiS8_S4_PS3_21rocsparse_index_base_b.num_vgpr, 18
	.set _ZN9rocsparseL22gebsrmvn_mxn_16_kernelILj72ELj12ELj6EdEEvi20rocsparse_direction_NS_24const_host_device_scalarIT2_EEPKiS6_PKS3_iiS8_S4_PS3_21rocsparse_index_base_b.num_agpr, 0
	.set _ZN9rocsparseL22gebsrmvn_mxn_16_kernelILj72ELj12ELj6EdEEvi20rocsparse_direction_NS_24const_host_device_scalarIT2_EEPKiS6_PKS3_iiS8_S4_PS3_21rocsparse_index_base_b.numbered_sgpr, 18
	.set _ZN9rocsparseL22gebsrmvn_mxn_16_kernelILj72ELj12ELj6EdEEvi20rocsparse_direction_NS_24const_host_device_scalarIT2_EEPKiS6_PKS3_iiS8_S4_PS3_21rocsparse_index_base_b.num_named_barrier, 0
	.set _ZN9rocsparseL22gebsrmvn_mxn_16_kernelILj72ELj12ELj6EdEEvi20rocsparse_direction_NS_24const_host_device_scalarIT2_EEPKiS6_PKS3_iiS8_S4_PS3_21rocsparse_index_base_b.private_seg_size, 0
	.set _ZN9rocsparseL22gebsrmvn_mxn_16_kernelILj72ELj12ELj6EdEEvi20rocsparse_direction_NS_24const_host_device_scalarIT2_EEPKiS6_PKS3_iiS8_S4_PS3_21rocsparse_index_base_b.uses_vcc, 1
	.set _ZN9rocsparseL22gebsrmvn_mxn_16_kernelILj72ELj12ELj6EdEEvi20rocsparse_direction_NS_24const_host_device_scalarIT2_EEPKiS6_PKS3_iiS8_S4_PS3_21rocsparse_index_base_b.uses_flat_scratch, 0
	.set _ZN9rocsparseL22gebsrmvn_mxn_16_kernelILj72ELj12ELj6EdEEvi20rocsparse_direction_NS_24const_host_device_scalarIT2_EEPKiS6_PKS3_iiS8_S4_PS3_21rocsparse_index_base_b.has_dyn_sized_stack, 0
	.set _ZN9rocsparseL22gebsrmvn_mxn_16_kernelILj72ELj12ELj6EdEEvi20rocsparse_direction_NS_24const_host_device_scalarIT2_EEPKiS6_PKS3_iiS8_S4_PS3_21rocsparse_index_base_b.has_recursion, 0
	.set _ZN9rocsparseL22gebsrmvn_mxn_16_kernelILj72ELj12ELj6EdEEvi20rocsparse_direction_NS_24const_host_device_scalarIT2_EEPKiS6_PKS3_iiS8_S4_PS3_21rocsparse_index_base_b.has_indirect_call, 0
	.section	.AMDGPU.csdata,"",@progbits
; Kernel info:
; codeLenInByte = 1092
; TotalNumSgprs: 22
; NumVgprs: 18
; ScratchSize: 0
; MemoryBound: 0
; FloatMode: 240
; IeeeMode: 1
; LDSByteSize: 576 bytes/workgroup (compile time only)
; SGPRBlocks: 2
; VGPRBlocks: 4
; NumSGPRsForWavesPerEU: 22
; NumVGPRsForWavesPerEU: 18
; Occupancy: 10
; WaveLimiterHint : 1
; COMPUTE_PGM_RSRC2:SCRATCH_EN: 0
; COMPUTE_PGM_RSRC2:USER_SGPR: 6
; COMPUTE_PGM_RSRC2:TRAP_HANDLER: 0
; COMPUTE_PGM_RSRC2:TGID_X_EN: 1
; COMPUTE_PGM_RSRC2:TGID_Y_EN: 0
; COMPUTE_PGM_RSRC2:TGID_Z_EN: 0
; COMPUTE_PGM_RSRC2:TIDIG_COMP_CNT: 0
	.section	.text._ZN9rocsparseL22gebsrmvn_mxn_16_kernelILj84ELj12ELj7EdEEvi20rocsparse_direction_NS_24const_host_device_scalarIT2_EEPKiS6_PKS3_iiS8_S4_PS3_21rocsparse_index_base_b,"axG",@progbits,_ZN9rocsparseL22gebsrmvn_mxn_16_kernelILj84ELj12ELj7EdEEvi20rocsparse_direction_NS_24const_host_device_scalarIT2_EEPKiS6_PKS3_iiS8_S4_PS3_21rocsparse_index_base_b,comdat
	.globl	_ZN9rocsparseL22gebsrmvn_mxn_16_kernelILj84ELj12ELj7EdEEvi20rocsparse_direction_NS_24const_host_device_scalarIT2_EEPKiS6_PKS3_iiS8_S4_PS3_21rocsparse_index_base_b ; -- Begin function _ZN9rocsparseL22gebsrmvn_mxn_16_kernelILj84ELj12ELj7EdEEvi20rocsparse_direction_NS_24const_host_device_scalarIT2_EEPKiS6_PKS3_iiS8_S4_PS3_21rocsparse_index_base_b
	.p2align	8
	.type	_ZN9rocsparseL22gebsrmvn_mxn_16_kernelILj84ELj12ELj7EdEEvi20rocsparse_direction_NS_24const_host_device_scalarIT2_EEPKiS6_PKS3_iiS8_S4_PS3_21rocsparse_index_base_b,@function
_ZN9rocsparseL22gebsrmvn_mxn_16_kernelILj84ELj12ELj7EdEEvi20rocsparse_direction_NS_24const_host_device_scalarIT2_EEPKiS6_PKS3_iiS8_S4_PS3_21rocsparse_index_base_b: ; @_ZN9rocsparseL22gebsrmvn_mxn_16_kernelILj84ELj12ELj7EdEEvi20rocsparse_direction_NS_24const_host_device_scalarIT2_EEPKiS6_PKS3_iiS8_S4_PS3_21rocsparse_index_base_b
; %bb.0:
	s_load_dwordx2 s[10:11], s[4:5], 0x48
	s_load_dwordx2 s[8:9], s[4:5], 0x8
	;; [unrolled: 1-line block ×3, first 2 shown]
	s_waitcnt lgkmcnt(0)
	s_bitcmp1_b32 s11, 0
	s_cselect_b64 s[12:13], -1, 0
	v_mov_b32_e32 v3, s8
	s_xor_b64 s[2:3], s[12:13], -1
	s_and_b64 vcc, exec, s[12:13]
	v_mov_b32_e32 v4, s9
	s_cbranch_vccnz .LBB66_2
; %bb.1:
	v_mov_b32_e32 v1, s8
	v_mov_b32_e32 v2, s9
	flat_load_dwordx2 v[3:4], v[1:2]
.LBB66_2:
	v_mov_b32_e32 v2, s1
	s_andn2_b64 vcc, exec, s[2:3]
	v_mov_b32_e32 v1, s0
	s_cbranch_vccnz .LBB66_4
; %bb.3:
	v_mov_b32_e32 v2, s1
	v_mov_b32_e32 v1, s0
	flat_load_dwordx2 v[1:2], v[1:2]
.LBB66_4:
	s_waitcnt vmcnt(0) lgkmcnt(0)
	v_cmp_neq_f64_e32 vcc, 0, v[3:4]
	v_cmp_neq_f64_e64 s[0:1], 1.0, v[1:2]
	s_or_b64 s[0:1], vcc, s[0:1]
	s_and_saveexec_b64 s[2:3], s[0:1]
	s_cbranch_execz .LBB66_37
; %bb.5:
	s_load_dwordx2 s[0:1], s[4:5], 0x10
	s_load_dword s2, s[4:5], 0x4
	v_mul_u32_u24_e32 v6, 0x2493, v0
	v_mov_b32_e32 v5, 7
	v_mul_lo_u16_sdwa v6, v6, v5 dst_sel:DWORD dst_unused:UNUSED_PAD src0_sel:WORD_1 src1_sel:DWORD
	v_sub_u16_e32 v12, v0, v6
	s_waitcnt lgkmcnt(0)
	s_cmp_lg_u32 s2, 1
	s_cselect_b64 s[12:13], -1, 0
	s_and_b64 vcc, exec, s[12:13]
	v_mov_b32_e32 v7, v12
	s_cbranch_vccnz .LBB66_7
; %bb.6:
	s_movk_i32 s2, 0x1556
	v_mul_u32_u24_sdwa v6, v0, s2 dst_sel:DWORD dst_unused:UNUSED_PAD src0_sel:WORD_0 src1_sel:DWORD
	v_mov_b32_e32 v7, 37
	v_mul_lo_u16_sdwa v7, v6, v7 dst_sel:DWORD dst_unused:UNUSED_PAD src0_sel:WORD_1 src1_sel:DWORD
	v_mul_lo_u16_sdwa v5, v7, v5 dst_sel:DWORD dst_unused:UNUSED_PAD src0_sel:BYTE_1 src1_sel:DWORD
	v_sub_u16_sdwa v5, v6, v5 dst_sel:DWORD dst_unused:UNUSED_PAD src0_sel:WORD_1 src1_sel:DWORD
	v_and_b32_e32 v7, 0xff, v5
.LBB66_7:
	s_ashr_i32 s7, s6, 31
	s_lshl_b64 s[2:3], s[6:7], 2
	s_add_u32 s0, s0, s2
	s_addc_u32 s1, s1, s3
	s_load_dwordx2 s[16:17], s[0:1], 0x0
	s_load_dwordx2 s[8:9], s[4:5], 0x40
	v_mov_b32_e32 v5, 0
	v_mov_b32_e32 v6, 0
	s_waitcnt lgkmcnt(0)
	s_cmp_ge_i32 s16, s17
	s_cbranch_scc1 .LBB66_12
; %bb.8:
	s_load_dwordx4 s[0:3], s[4:5], 0x18
	s_load_dwordx2 s[14:15], s[4:5], 0x30
	s_movk_i32 s4, 0x30d
	v_mul_u32_u24_sdwa v13, v0, s4 dst_sel:DWORD dst_unused:UNUSED_PAD src0_sel:WORD_0 src1_sel:DWORD
	s_mul_i32 s4, s16, 0x54
	v_add_u32_e32 v5, s4, v0
	s_mul_i32 s4, s10, 0x54
	v_subrev_u32_e32 v8, s4, v5
	v_mov_b32_e32 v5, 0
	s_sub_i32 s7, s17, s10
	s_sub_i32 s11, s16, s10
	v_mov_b32_e32 v6, 0
	v_mov_b32_e32 v9, 0
	s_branch .LBB66_10
.LBB66_9:                               ;   in Loop: Header=BB66_10 Depth=1
	s_or_b64 exec, exec, s[4:5]
	s_add_i32 s11, s11, 1
	s_cmp_ge_i32 s11, s7
	v_add_u32_e32 v8, 0x54, v8
	s_cbranch_scc1 .LBB66_12
.LBB66_10:                              ; =>This Inner Loop Header: Depth=1
	v_add_u32_sdwa v10, v13, s11 dst_sel:DWORD dst_unused:UNUSED_PAD src0_sel:WORD_1 src1_sel:DWORD
	v_cmp_gt_i32_e32 vcc, s7, v10
	s_and_saveexec_b64 s[4:5], vcc
	s_cbranch_execz .LBB66_9
; %bb.11:                               ;   in Loop: Header=BB66_10 Depth=1
	v_ashrrev_i32_e32 v11, 31, v10
	v_lshlrev_b64 v[10:11], 2, v[10:11]
	s_waitcnt lgkmcnt(0)
	v_mov_b32_e32 v14, s1
	v_add_co_u32_e32 v10, vcc, s0, v10
	v_addc_co_u32_e32 v11, vcc, v14, v11, vcc
	global_load_dword v14, v[10:11], off
	v_lshlrev_b64 v[10:11], 3, v[8:9]
	v_mov_b32_e32 v16, s3
	v_add_co_u32_e32 v10, vcc, s2, v10
	v_addc_co_u32_e32 v11, vcc, v16, v11, vcc
	v_mov_b32_e32 v17, s15
	global_load_dwordx2 v[10:11], v[10:11], off
	s_waitcnt vmcnt(1)
	v_subrev_u32_e32 v14, s10, v14
	v_mad_u64_u32 v[14:15], s[16:17], v14, 7, v[7:8]
	v_ashrrev_i32_e32 v15, 31, v14
	v_lshlrev_b64 v[14:15], 3, v[14:15]
	v_add_co_u32_e32 v14, vcc, s14, v14
	v_addc_co_u32_e32 v15, vcc, v17, v15, vcc
	global_load_dwordx2 v[14:15], v[14:15], off
	s_waitcnt vmcnt(0)
	v_fma_f64 v[5:6], v[10:11], v[14:15], v[5:6]
	s_branch .LBB66_9
.LBB66_12:
	v_lshlrev_b32_e32 v9, 3, v0
	s_and_b64 vcc, exec, s[12:13]
	ds_write_b64 v9, v[5:6]
	s_waitcnt lgkmcnt(0)
	s_barrier
	s_cbranch_vccz .LBB66_22
; %bb.13:
	v_cmp_gt_u16_e32 vcc, 3, v12
	s_and_saveexec_b64 s[0:1], vcc
	s_cbranch_execz .LBB66_15
; %bb.14:
	ds_read2_b64 v[13:16], v9 offset1:4
	s_waitcnt lgkmcnt(0)
	v_add_f64 v[7:8], v[15:16], v[13:14]
	ds_write_b64 v9, v[7:8]
.LBB66_15:
	s_or_b64 exec, exec, s[0:1]
	v_cmp_gt_u16_e32 vcc, 2, v12
	s_waitcnt lgkmcnt(0)
	s_barrier
	s_and_saveexec_b64 s[0:1], vcc
	s_cbranch_execz .LBB66_17
; %bb.16:
	ds_read2_b64 v[13:16], v9 offset1:2
	s_waitcnt lgkmcnt(0)
	v_add_f64 v[7:8], v[15:16], v[13:14]
	ds_write_b64 v9, v[7:8]
.LBB66_17:
	s_or_b64 exec, exec, s[0:1]
	v_cmp_eq_u16_e32 vcc, 0, v12
	s_waitcnt lgkmcnt(0)
	s_barrier
	s_and_saveexec_b64 s[0:1], vcc
	s_cbranch_execz .LBB66_19
; %bb.18:
	ds_read2_b64 v[10:13], v9 offset1:1
	s_waitcnt lgkmcnt(0)
	v_add_f64 v[7:8], v[12:13], v[10:11]
	ds_write_b64 v9, v[7:8]
.LBB66_19:
	s_or_b64 exec, exec, s[0:1]
	v_mov_b32_e32 v8, v6
	v_cmp_gt_u32_e32 vcc, 12, v0
	v_mov_b32_e32 v7, v5
	s_waitcnt lgkmcnt(0)
	s_barrier
	s_and_saveexec_b64 s[0:1], vcc
; %bb.20:
	v_mad_u32_u24 v7, v0, 48, v9
	ds_read_b64 v[7:8], v7
; %bb.21:
	s_or_b64 exec, exec, s[0:1]
	s_branch .LBB66_32
.LBB66_22:
                                        ; implicit-def: $vgpr7_vgpr8
	s_cbranch_execz .LBB66_32
; %bb.23:
	v_cmp_gt_u32_e32 vcc, 36, v0
	s_and_saveexec_b64 s[0:1], vcc
	s_cbranch_execz .LBB66_25
; %bb.24:
	ds_read2_b64 v[10:13], v9 offset1:48
	s_waitcnt lgkmcnt(0)
	v_add_f64 v[7:8], v[12:13], v[10:11]
	ds_write_b64 v9, v[7:8]
.LBB66_25:
	s_or_b64 exec, exec, s[0:1]
	v_cmp_gt_u32_e32 vcc, 24, v0
	s_waitcnt lgkmcnt(0)
	s_barrier
	s_and_saveexec_b64 s[0:1], vcc
	s_cbranch_execz .LBB66_27
; %bb.26:
	ds_read2_b64 v[10:13], v9 offset1:24
	s_waitcnt lgkmcnt(0)
	v_add_f64 v[7:8], v[12:13], v[10:11]
	ds_write_b64 v9, v[7:8]
.LBB66_27:
	s_or_b64 exec, exec, s[0:1]
	v_cmp_lt_u32_e32 vcc, 11, v0
	s_waitcnt lgkmcnt(0)
	s_and_saveexec_b64 s[0:1], vcc
	s_xor_b64 s[0:1], exec, s[0:1]
; %bb.28:
                                        ; implicit-def: $vgpr9
; %bb.29:
	s_andn2_saveexec_b64 s[0:1], s[0:1]
	s_cbranch_execz .LBB66_31
; %bb.30:
	ds_read2_b64 v[5:8], v9 offset1:12
	s_waitcnt lgkmcnt(0)
	v_add_f64 v[5:6], v[7:8], v[5:6]
	ds_write_b64 v9, v[5:6]
	s_waitcnt lgkmcnt(0)
	ds_read_b64 v[5:6], v9
.LBB66_31:
	s_or_b64 exec, exec, s[0:1]
	s_waitcnt lgkmcnt(0)
	v_mov_b32_e32 v8, v6
	v_mov_b32_e32 v7, v5
.LBB66_32:
	v_cmp_gt_u32_e32 vcc, 12, v0
	s_and_b64 exec, exec, vcc
	s_cbranch_execz .LBB66_37
; %bb.33:
	v_cmp_eq_f64_e32 vcc, 0, v[1:2]
	s_waitcnt lgkmcnt(0)
	v_mul_f64 v[3:4], v[3:4], v[7:8]
	s_and_saveexec_b64 s[0:1], vcc
	s_xor_b64 s[0:1], exec, s[0:1]
	s_cbranch_execz .LBB66_35
; %bb.34:
	v_mad_u64_u32 v[0:1], s[2:3], s6, 12, v[0:1]
	v_mov_b32_e32 v1, 0
	v_mov_b32_e32 v2, s9
	v_lshlrev_b64 v[0:1], 3, v[0:1]
	v_add_co_u32_e32 v0, vcc, s8, v0
	v_addc_co_u32_e32 v1, vcc, v2, v1, vcc
	global_store_dwordx2 v[0:1], v[3:4], off
                                        ; implicit-def: $vgpr0
                                        ; implicit-def: $vgpr1_vgpr2
                                        ; implicit-def: $vgpr3_vgpr4
.LBB66_35:
	s_andn2_saveexec_b64 s[0:1], s[0:1]
	s_cbranch_execz .LBB66_37
; %bb.36:
	v_mad_u64_u32 v[5:6], s[0:1], s6, 12, v[0:1]
	v_mov_b32_e32 v6, 0
	v_mov_b32_e32 v0, s9
	v_lshlrev_b64 v[5:6], 3, v[5:6]
	v_add_co_u32_e32 v5, vcc, s8, v5
	v_addc_co_u32_e32 v6, vcc, v0, v6, vcc
	global_load_dwordx2 v[7:8], v[5:6], off
	s_waitcnt vmcnt(0)
	v_fma_f64 v[0:1], v[1:2], v[7:8], v[3:4]
	global_store_dwordx2 v[5:6], v[0:1], off
.LBB66_37:
	s_endpgm
	.section	.rodata,"a",@progbits
	.p2align	6, 0x0
	.amdhsa_kernel _ZN9rocsparseL22gebsrmvn_mxn_16_kernelILj84ELj12ELj7EdEEvi20rocsparse_direction_NS_24const_host_device_scalarIT2_EEPKiS6_PKS3_iiS8_S4_PS3_21rocsparse_index_base_b
		.amdhsa_group_segment_fixed_size 672
		.amdhsa_private_segment_fixed_size 0
		.amdhsa_kernarg_size 80
		.amdhsa_user_sgpr_count 6
		.amdhsa_user_sgpr_private_segment_buffer 1
		.amdhsa_user_sgpr_dispatch_ptr 0
		.amdhsa_user_sgpr_queue_ptr 0
		.amdhsa_user_sgpr_kernarg_segment_ptr 1
		.amdhsa_user_sgpr_dispatch_id 0
		.amdhsa_user_sgpr_flat_scratch_init 0
		.amdhsa_user_sgpr_private_segment_size 0
		.amdhsa_uses_dynamic_stack 0
		.amdhsa_system_sgpr_private_segment_wavefront_offset 0
		.amdhsa_system_sgpr_workgroup_id_x 1
		.amdhsa_system_sgpr_workgroup_id_y 0
		.amdhsa_system_sgpr_workgroup_id_z 0
		.amdhsa_system_sgpr_workgroup_info 0
		.amdhsa_system_vgpr_workitem_id 0
		.amdhsa_next_free_vgpr 18
		.amdhsa_next_free_sgpr 18
		.amdhsa_reserve_vcc 1
		.amdhsa_reserve_flat_scratch 0
		.amdhsa_float_round_mode_32 0
		.amdhsa_float_round_mode_16_64 0
		.amdhsa_float_denorm_mode_32 3
		.amdhsa_float_denorm_mode_16_64 3
		.amdhsa_dx10_clamp 1
		.amdhsa_ieee_mode 1
		.amdhsa_fp16_overflow 0
		.amdhsa_exception_fp_ieee_invalid_op 0
		.amdhsa_exception_fp_denorm_src 0
		.amdhsa_exception_fp_ieee_div_zero 0
		.amdhsa_exception_fp_ieee_overflow 0
		.amdhsa_exception_fp_ieee_underflow 0
		.amdhsa_exception_fp_ieee_inexact 0
		.amdhsa_exception_int_div_zero 0
	.end_amdhsa_kernel
	.section	.text._ZN9rocsparseL22gebsrmvn_mxn_16_kernelILj84ELj12ELj7EdEEvi20rocsparse_direction_NS_24const_host_device_scalarIT2_EEPKiS6_PKS3_iiS8_S4_PS3_21rocsparse_index_base_b,"axG",@progbits,_ZN9rocsparseL22gebsrmvn_mxn_16_kernelILj84ELj12ELj7EdEEvi20rocsparse_direction_NS_24const_host_device_scalarIT2_EEPKiS6_PKS3_iiS8_S4_PS3_21rocsparse_index_base_b,comdat
.Lfunc_end66:
	.size	_ZN9rocsparseL22gebsrmvn_mxn_16_kernelILj84ELj12ELj7EdEEvi20rocsparse_direction_NS_24const_host_device_scalarIT2_EEPKiS6_PKS3_iiS8_S4_PS3_21rocsparse_index_base_b, .Lfunc_end66-_ZN9rocsparseL22gebsrmvn_mxn_16_kernelILj84ELj12ELj7EdEEvi20rocsparse_direction_NS_24const_host_device_scalarIT2_EEPKiS6_PKS3_iiS8_S4_PS3_21rocsparse_index_base_b
                                        ; -- End function
	.set _ZN9rocsparseL22gebsrmvn_mxn_16_kernelILj84ELj12ELj7EdEEvi20rocsparse_direction_NS_24const_host_device_scalarIT2_EEPKiS6_PKS3_iiS8_S4_PS3_21rocsparse_index_base_b.num_vgpr, 18
	.set _ZN9rocsparseL22gebsrmvn_mxn_16_kernelILj84ELj12ELj7EdEEvi20rocsparse_direction_NS_24const_host_device_scalarIT2_EEPKiS6_PKS3_iiS8_S4_PS3_21rocsparse_index_base_b.num_agpr, 0
	.set _ZN9rocsparseL22gebsrmvn_mxn_16_kernelILj84ELj12ELj7EdEEvi20rocsparse_direction_NS_24const_host_device_scalarIT2_EEPKiS6_PKS3_iiS8_S4_PS3_21rocsparse_index_base_b.numbered_sgpr, 18
	.set _ZN9rocsparseL22gebsrmvn_mxn_16_kernelILj84ELj12ELj7EdEEvi20rocsparse_direction_NS_24const_host_device_scalarIT2_EEPKiS6_PKS3_iiS8_S4_PS3_21rocsparse_index_base_b.num_named_barrier, 0
	.set _ZN9rocsparseL22gebsrmvn_mxn_16_kernelILj84ELj12ELj7EdEEvi20rocsparse_direction_NS_24const_host_device_scalarIT2_EEPKiS6_PKS3_iiS8_S4_PS3_21rocsparse_index_base_b.private_seg_size, 0
	.set _ZN9rocsparseL22gebsrmvn_mxn_16_kernelILj84ELj12ELj7EdEEvi20rocsparse_direction_NS_24const_host_device_scalarIT2_EEPKiS6_PKS3_iiS8_S4_PS3_21rocsparse_index_base_b.uses_vcc, 1
	.set _ZN9rocsparseL22gebsrmvn_mxn_16_kernelILj84ELj12ELj7EdEEvi20rocsparse_direction_NS_24const_host_device_scalarIT2_EEPKiS6_PKS3_iiS8_S4_PS3_21rocsparse_index_base_b.uses_flat_scratch, 0
	.set _ZN9rocsparseL22gebsrmvn_mxn_16_kernelILj84ELj12ELj7EdEEvi20rocsparse_direction_NS_24const_host_device_scalarIT2_EEPKiS6_PKS3_iiS8_S4_PS3_21rocsparse_index_base_b.has_dyn_sized_stack, 0
	.set _ZN9rocsparseL22gebsrmvn_mxn_16_kernelILj84ELj12ELj7EdEEvi20rocsparse_direction_NS_24const_host_device_scalarIT2_EEPKiS6_PKS3_iiS8_S4_PS3_21rocsparse_index_base_b.has_recursion, 0
	.set _ZN9rocsparseL22gebsrmvn_mxn_16_kernelILj84ELj12ELj7EdEEvi20rocsparse_direction_NS_24const_host_device_scalarIT2_EEPKiS6_PKS3_iiS8_S4_PS3_21rocsparse_index_base_b.has_indirect_call, 0
	.section	.AMDGPU.csdata,"",@progbits
; Kernel info:
; codeLenInByte = 1100
; TotalNumSgprs: 22
; NumVgprs: 18
; ScratchSize: 0
; MemoryBound: 0
; FloatMode: 240
; IeeeMode: 1
; LDSByteSize: 672 bytes/workgroup (compile time only)
; SGPRBlocks: 2
; VGPRBlocks: 4
; NumSGPRsForWavesPerEU: 22
; NumVGPRsForWavesPerEU: 18
; Occupancy: 10
; WaveLimiterHint : 1
; COMPUTE_PGM_RSRC2:SCRATCH_EN: 0
; COMPUTE_PGM_RSRC2:USER_SGPR: 6
; COMPUTE_PGM_RSRC2:TRAP_HANDLER: 0
; COMPUTE_PGM_RSRC2:TGID_X_EN: 1
; COMPUTE_PGM_RSRC2:TGID_Y_EN: 0
; COMPUTE_PGM_RSRC2:TGID_Z_EN: 0
; COMPUTE_PGM_RSRC2:TIDIG_COMP_CNT: 0
	.section	.text._ZN9rocsparseL22gebsrmvn_mxn_16_kernelILj96ELj12ELj8EdEEvi20rocsparse_direction_NS_24const_host_device_scalarIT2_EEPKiS6_PKS3_iiS8_S4_PS3_21rocsparse_index_base_b,"axG",@progbits,_ZN9rocsparseL22gebsrmvn_mxn_16_kernelILj96ELj12ELj8EdEEvi20rocsparse_direction_NS_24const_host_device_scalarIT2_EEPKiS6_PKS3_iiS8_S4_PS3_21rocsparse_index_base_b,comdat
	.globl	_ZN9rocsparseL22gebsrmvn_mxn_16_kernelILj96ELj12ELj8EdEEvi20rocsparse_direction_NS_24const_host_device_scalarIT2_EEPKiS6_PKS3_iiS8_S4_PS3_21rocsparse_index_base_b ; -- Begin function _ZN9rocsparseL22gebsrmvn_mxn_16_kernelILj96ELj12ELj8EdEEvi20rocsparse_direction_NS_24const_host_device_scalarIT2_EEPKiS6_PKS3_iiS8_S4_PS3_21rocsparse_index_base_b
	.p2align	8
	.type	_ZN9rocsparseL22gebsrmvn_mxn_16_kernelILj96ELj12ELj8EdEEvi20rocsparse_direction_NS_24const_host_device_scalarIT2_EEPKiS6_PKS3_iiS8_S4_PS3_21rocsparse_index_base_b,@function
_ZN9rocsparseL22gebsrmvn_mxn_16_kernelILj96ELj12ELj8EdEEvi20rocsparse_direction_NS_24const_host_device_scalarIT2_EEPKiS6_PKS3_iiS8_S4_PS3_21rocsparse_index_base_b: ; @_ZN9rocsparseL22gebsrmvn_mxn_16_kernelILj96ELj12ELj8EdEEvi20rocsparse_direction_NS_24const_host_device_scalarIT2_EEPKiS6_PKS3_iiS8_S4_PS3_21rocsparse_index_base_b
; %bb.0:
	s_load_dwordx2 s[10:11], s[4:5], 0x48
	s_load_dwordx2 s[8:9], s[4:5], 0x8
	;; [unrolled: 1-line block ×3, first 2 shown]
	s_waitcnt lgkmcnt(0)
	s_bitcmp1_b32 s11, 0
	s_cselect_b64 s[12:13], -1, 0
	v_mov_b32_e32 v3, s8
	s_xor_b64 s[2:3], s[12:13], -1
	s_and_b64 vcc, exec, s[12:13]
	v_mov_b32_e32 v4, s9
	s_cbranch_vccnz .LBB67_2
; %bb.1:
	v_mov_b32_e32 v1, s8
	v_mov_b32_e32 v2, s9
	flat_load_dwordx2 v[3:4], v[1:2]
.LBB67_2:
	v_mov_b32_e32 v2, s1
	s_andn2_b64 vcc, exec, s[2:3]
	v_mov_b32_e32 v1, s0
	s_cbranch_vccnz .LBB67_4
; %bb.3:
	v_mov_b32_e32 v2, s1
	v_mov_b32_e32 v1, s0
	flat_load_dwordx2 v[1:2], v[1:2]
.LBB67_4:
	s_waitcnt vmcnt(0) lgkmcnt(0)
	v_cmp_neq_f64_e32 vcc, 0, v[3:4]
	v_cmp_neq_f64_e64 s[0:1], 1.0, v[1:2]
	s_or_b64 s[0:1], vcc, s[0:1]
	s_and_saveexec_b64 s[2:3], s[0:1]
	s_cbranch_execz .LBB67_37
; %bb.5:
	s_load_dword s2, s[4:5], 0x4
	s_load_dwordx2 s[0:1], s[4:5], 0x10
	v_and_b32_e32 v11, 7, v0
	v_mov_b32_e32 v12, v11
	s_waitcnt lgkmcnt(0)
	s_cmp_lg_u32 s2, 1
	s_cselect_b64 s[12:13], -1, 0
	s_and_b64 vcc, exec, s[12:13]
	s_cbranch_vccnz .LBB67_7
; %bb.6:
	v_mul_u32_u24_e32 v5, 0x1556, v0
	v_bfe_u32 v12, v5, 16, 3
.LBB67_7:
	s_ashr_i32 s7, s6, 31
	s_lshl_b64 s[2:3], s[6:7], 2
	s_add_u32 s0, s0, s2
	s_addc_u32 s1, s1, s3
	s_load_dwordx2 s[16:17], s[0:1], 0x0
	s_load_dwordx2 s[8:9], s[4:5], 0x40
	v_mov_b32_e32 v5, 0
	v_mov_b32_e32 v6, 0
	s_waitcnt lgkmcnt(0)
	s_cmp_ge_i32 s16, s17
	s_cbranch_scc1 .LBB67_12
; %bb.8:
	s_load_dwordx4 s[0:3], s[4:5], 0x18
	s_load_dwordx2 s[14:15], s[4:5], 0x30
	s_mul_i32 s4, s16, 0x60
	v_add_u32_e32 v5, s4, v0
	s_mul_i32 s4, s10, 0x60
	v_subrev_u32_e32 v7, s4, v5
	v_mov_b32_e32 v5, 0
	s_sub_i32 s7, s17, s10
	s_sub_i32 s11, s16, s10
	v_mul_u32_u24_e32 v13, 0x2ab, v0
	v_mov_b32_e32 v6, 0
	v_mov_b32_e32 v8, 0
	s_branch .LBB67_10
.LBB67_9:                               ;   in Loop: Header=BB67_10 Depth=1
	s_or_b64 exec, exec, s[4:5]
	s_add_i32 s11, s11, 1
	s_cmp_ge_i32 s11, s7
	v_add_u32_e32 v7, 0x60, v7
	s_cbranch_scc1 .LBB67_12
.LBB67_10:                              ; =>This Inner Loop Header: Depth=1
	v_add_u32_sdwa v9, v13, s11 dst_sel:DWORD dst_unused:UNUSED_PAD src0_sel:WORD_1 src1_sel:DWORD
	v_cmp_gt_i32_e32 vcc, s7, v9
	s_and_saveexec_b64 s[4:5], vcc
	s_cbranch_execz .LBB67_9
; %bb.11:                               ;   in Loop: Header=BB67_10 Depth=1
	v_ashrrev_i32_e32 v10, 31, v9
	v_lshlrev_b64 v[9:10], 2, v[9:10]
	s_waitcnt lgkmcnt(0)
	v_mov_b32_e32 v14, s1
	v_add_co_u32_e32 v9, vcc, s0, v9
	v_addc_co_u32_e32 v10, vcc, v14, v10, vcc
	global_load_dword v14, v[9:10], off
	v_lshlrev_b64 v[9:10], 3, v[7:8]
	v_mov_b32_e32 v15, s3
	v_add_co_u32_e32 v9, vcc, s2, v9
	v_addc_co_u32_e32 v10, vcc, v15, v10, vcc
	v_mov_b32_e32 v16, s15
	global_load_dwordx2 v[9:10], v[9:10], off
	s_waitcnt vmcnt(1)
	v_subrev_u32_e32 v14, s10, v14
	v_lshl_or_b32 v14, v14, 3, v12
	v_ashrrev_i32_e32 v15, 31, v14
	v_lshlrev_b64 v[14:15], 3, v[14:15]
	v_add_co_u32_e32 v14, vcc, s14, v14
	v_addc_co_u32_e32 v15, vcc, v16, v15, vcc
	global_load_dwordx2 v[14:15], v[14:15], off
	s_waitcnt vmcnt(0)
	v_fma_f64 v[5:6], v[9:10], v[14:15], v[5:6]
	s_branch .LBB67_9
.LBB67_12:
	v_lshlrev_b32_e32 v9, 3, v0
	s_and_b64 vcc, exec, s[12:13]
	ds_write_b64 v9, v[5:6]
	s_waitcnt lgkmcnt(0)
	s_barrier
	s_cbranch_vccz .LBB67_22
; %bb.13:
	v_cmp_gt_u32_e32 vcc, 4, v11
	s_and_saveexec_b64 s[0:1], vcc
	s_cbranch_execz .LBB67_15
; %bb.14:
	ds_read2_b64 v[12:15], v9 offset1:4
	s_waitcnt lgkmcnt(0)
	v_add_f64 v[7:8], v[14:15], v[12:13]
	ds_write_b64 v9, v[7:8]
.LBB67_15:
	s_or_b64 exec, exec, s[0:1]
	v_cmp_gt_u32_e32 vcc, 2, v11
	s_waitcnt lgkmcnt(0)
	s_barrier
	s_and_saveexec_b64 s[0:1], vcc
	s_cbranch_execz .LBB67_17
; %bb.16:
	ds_read2_b64 v[12:15], v9 offset1:2
	s_waitcnt lgkmcnt(0)
	v_add_f64 v[7:8], v[14:15], v[12:13]
	ds_write_b64 v9, v[7:8]
.LBB67_17:
	s_or_b64 exec, exec, s[0:1]
	v_cmp_eq_u32_e32 vcc, 0, v11
	s_waitcnt lgkmcnt(0)
	s_barrier
	s_and_saveexec_b64 s[0:1], vcc
	s_cbranch_execz .LBB67_19
; %bb.18:
	ds_read2_b64 v[10:13], v9 offset1:1
	s_waitcnt lgkmcnt(0)
	v_add_f64 v[7:8], v[12:13], v[10:11]
	ds_write_b64 v9, v[7:8]
.LBB67_19:
	s_or_b64 exec, exec, s[0:1]
	v_mov_b32_e32 v8, v6
	v_cmp_gt_u32_e32 vcc, 12, v0
	v_mov_b32_e32 v7, v5
	s_waitcnt lgkmcnt(0)
	s_barrier
	s_and_saveexec_b64 s[0:1], vcc
; %bb.20:
	v_mad_u32_u24 v7, v0, 56, v9
	ds_read_b64 v[7:8], v7
; %bb.21:
	s_or_b64 exec, exec, s[0:1]
	s_branch .LBB67_32
.LBB67_22:
                                        ; implicit-def: $vgpr7_vgpr8
	s_cbranch_execz .LBB67_32
; %bb.23:
	v_cmp_gt_u32_e32 vcc, 48, v0
	s_and_saveexec_b64 s[0:1], vcc
	s_cbranch_execz .LBB67_25
; %bb.24:
	ds_read2_b64 v[10:13], v9 offset1:48
	s_waitcnt lgkmcnt(0)
	v_add_f64 v[7:8], v[12:13], v[10:11]
	ds_write_b64 v9, v[7:8]
.LBB67_25:
	s_or_b64 exec, exec, s[0:1]
	v_cmp_gt_u32_e32 vcc, 24, v0
	s_waitcnt lgkmcnt(0)
	s_barrier
	s_and_saveexec_b64 s[0:1], vcc
	s_cbranch_execz .LBB67_27
; %bb.26:
	ds_read2_b64 v[10:13], v9 offset1:24
	s_waitcnt lgkmcnt(0)
	v_add_f64 v[7:8], v[12:13], v[10:11]
	ds_write_b64 v9, v[7:8]
.LBB67_27:
	s_or_b64 exec, exec, s[0:1]
	v_cmp_lt_u32_e32 vcc, 11, v0
	s_waitcnt lgkmcnt(0)
	s_and_saveexec_b64 s[0:1], vcc
	s_xor_b64 s[0:1], exec, s[0:1]
; %bb.28:
                                        ; implicit-def: $vgpr9
; %bb.29:
	s_andn2_saveexec_b64 s[0:1], s[0:1]
	s_cbranch_execz .LBB67_31
; %bb.30:
	ds_read2_b64 v[5:8], v9 offset1:12
	s_waitcnt lgkmcnt(0)
	v_add_f64 v[5:6], v[7:8], v[5:6]
	ds_write_b64 v9, v[5:6]
	s_waitcnt lgkmcnt(0)
	ds_read_b64 v[5:6], v9
.LBB67_31:
	s_or_b64 exec, exec, s[0:1]
	s_waitcnt lgkmcnt(0)
	v_mov_b32_e32 v8, v6
	v_mov_b32_e32 v7, v5
.LBB67_32:
	v_cmp_gt_u32_e32 vcc, 12, v0
	s_and_b64 exec, exec, vcc
	s_cbranch_execz .LBB67_37
; %bb.33:
	v_cmp_eq_f64_e32 vcc, 0, v[1:2]
	s_waitcnt lgkmcnt(0)
	v_mul_f64 v[3:4], v[3:4], v[7:8]
	s_and_saveexec_b64 s[0:1], vcc
	s_xor_b64 s[0:1], exec, s[0:1]
	s_cbranch_execz .LBB67_35
; %bb.34:
	v_mad_u64_u32 v[0:1], s[2:3], s6, 12, v[0:1]
	v_mov_b32_e32 v1, 0
	v_mov_b32_e32 v2, s9
	v_lshlrev_b64 v[0:1], 3, v[0:1]
	v_add_co_u32_e32 v0, vcc, s8, v0
	v_addc_co_u32_e32 v1, vcc, v2, v1, vcc
	global_store_dwordx2 v[0:1], v[3:4], off
                                        ; implicit-def: $vgpr0
                                        ; implicit-def: $vgpr1_vgpr2
                                        ; implicit-def: $vgpr3_vgpr4
.LBB67_35:
	s_andn2_saveexec_b64 s[0:1], s[0:1]
	s_cbranch_execz .LBB67_37
; %bb.36:
	v_mad_u64_u32 v[5:6], s[0:1], s6, 12, v[0:1]
	v_mov_b32_e32 v6, 0
	v_mov_b32_e32 v0, s9
	v_lshlrev_b64 v[5:6], 3, v[5:6]
	v_add_co_u32_e32 v5, vcc, s8, v5
	v_addc_co_u32_e32 v6, vcc, v0, v6, vcc
	global_load_dwordx2 v[7:8], v[5:6], off
	s_waitcnt vmcnt(0)
	v_fma_f64 v[0:1], v[1:2], v[7:8], v[3:4]
	global_store_dwordx2 v[5:6], v[0:1], off
.LBB67_37:
	s_endpgm
	.section	.rodata,"a",@progbits
	.p2align	6, 0x0
	.amdhsa_kernel _ZN9rocsparseL22gebsrmvn_mxn_16_kernelILj96ELj12ELj8EdEEvi20rocsparse_direction_NS_24const_host_device_scalarIT2_EEPKiS6_PKS3_iiS8_S4_PS3_21rocsparse_index_base_b
		.amdhsa_group_segment_fixed_size 768
		.amdhsa_private_segment_fixed_size 0
		.amdhsa_kernarg_size 80
		.amdhsa_user_sgpr_count 6
		.amdhsa_user_sgpr_private_segment_buffer 1
		.amdhsa_user_sgpr_dispatch_ptr 0
		.amdhsa_user_sgpr_queue_ptr 0
		.amdhsa_user_sgpr_kernarg_segment_ptr 1
		.amdhsa_user_sgpr_dispatch_id 0
		.amdhsa_user_sgpr_flat_scratch_init 0
		.amdhsa_user_sgpr_private_segment_size 0
		.amdhsa_uses_dynamic_stack 0
		.amdhsa_system_sgpr_private_segment_wavefront_offset 0
		.amdhsa_system_sgpr_workgroup_id_x 1
		.amdhsa_system_sgpr_workgroup_id_y 0
		.amdhsa_system_sgpr_workgroup_id_z 0
		.amdhsa_system_sgpr_workgroup_info 0
		.amdhsa_system_vgpr_workitem_id 0
		.amdhsa_next_free_vgpr 17
		.amdhsa_next_free_sgpr 18
		.amdhsa_reserve_vcc 1
		.amdhsa_reserve_flat_scratch 0
		.amdhsa_float_round_mode_32 0
		.amdhsa_float_round_mode_16_64 0
		.amdhsa_float_denorm_mode_32 3
		.amdhsa_float_denorm_mode_16_64 3
		.amdhsa_dx10_clamp 1
		.amdhsa_ieee_mode 1
		.amdhsa_fp16_overflow 0
		.amdhsa_exception_fp_ieee_invalid_op 0
		.amdhsa_exception_fp_denorm_src 0
		.amdhsa_exception_fp_ieee_div_zero 0
		.amdhsa_exception_fp_ieee_overflow 0
		.amdhsa_exception_fp_ieee_underflow 0
		.amdhsa_exception_fp_ieee_inexact 0
		.amdhsa_exception_int_div_zero 0
	.end_amdhsa_kernel
	.section	.text._ZN9rocsparseL22gebsrmvn_mxn_16_kernelILj96ELj12ELj8EdEEvi20rocsparse_direction_NS_24const_host_device_scalarIT2_EEPKiS6_PKS3_iiS8_S4_PS3_21rocsparse_index_base_b,"axG",@progbits,_ZN9rocsparseL22gebsrmvn_mxn_16_kernelILj96ELj12ELj8EdEEvi20rocsparse_direction_NS_24const_host_device_scalarIT2_EEPKiS6_PKS3_iiS8_S4_PS3_21rocsparse_index_base_b,comdat
.Lfunc_end67:
	.size	_ZN9rocsparseL22gebsrmvn_mxn_16_kernelILj96ELj12ELj8EdEEvi20rocsparse_direction_NS_24const_host_device_scalarIT2_EEPKiS6_PKS3_iiS8_S4_PS3_21rocsparse_index_base_b, .Lfunc_end67-_ZN9rocsparseL22gebsrmvn_mxn_16_kernelILj96ELj12ELj8EdEEvi20rocsparse_direction_NS_24const_host_device_scalarIT2_EEPKiS6_PKS3_iiS8_S4_PS3_21rocsparse_index_base_b
                                        ; -- End function
	.set _ZN9rocsparseL22gebsrmvn_mxn_16_kernelILj96ELj12ELj8EdEEvi20rocsparse_direction_NS_24const_host_device_scalarIT2_EEPKiS6_PKS3_iiS8_S4_PS3_21rocsparse_index_base_b.num_vgpr, 17
	.set _ZN9rocsparseL22gebsrmvn_mxn_16_kernelILj96ELj12ELj8EdEEvi20rocsparse_direction_NS_24const_host_device_scalarIT2_EEPKiS6_PKS3_iiS8_S4_PS3_21rocsparse_index_base_b.num_agpr, 0
	.set _ZN9rocsparseL22gebsrmvn_mxn_16_kernelILj96ELj12ELj8EdEEvi20rocsparse_direction_NS_24const_host_device_scalarIT2_EEPKiS6_PKS3_iiS8_S4_PS3_21rocsparse_index_base_b.numbered_sgpr, 18
	.set _ZN9rocsparseL22gebsrmvn_mxn_16_kernelILj96ELj12ELj8EdEEvi20rocsparse_direction_NS_24const_host_device_scalarIT2_EEPKiS6_PKS3_iiS8_S4_PS3_21rocsparse_index_base_b.num_named_barrier, 0
	.set _ZN9rocsparseL22gebsrmvn_mxn_16_kernelILj96ELj12ELj8EdEEvi20rocsparse_direction_NS_24const_host_device_scalarIT2_EEPKiS6_PKS3_iiS8_S4_PS3_21rocsparse_index_base_b.private_seg_size, 0
	.set _ZN9rocsparseL22gebsrmvn_mxn_16_kernelILj96ELj12ELj8EdEEvi20rocsparse_direction_NS_24const_host_device_scalarIT2_EEPKiS6_PKS3_iiS8_S4_PS3_21rocsparse_index_base_b.uses_vcc, 1
	.set _ZN9rocsparseL22gebsrmvn_mxn_16_kernelILj96ELj12ELj8EdEEvi20rocsparse_direction_NS_24const_host_device_scalarIT2_EEPKiS6_PKS3_iiS8_S4_PS3_21rocsparse_index_base_b.uses_flat_scratch, 0
	.set _ZN9rocsparseL22gebsrmvn_mxn_16_kernelILj96ELj12ELj8EdEEvi20rocsparse_direction_NS_24const_host_device_scalarIT2_EEPKiS6_PKS3_iiS8_S4_PS3_21rocsparse_index_base_b.has_dyn_sized_stack, 0
	.set _ZN9rocsparseL22gebsrmvn_mxn_16_kernelILj96ELj12ELj8EdEEvi20rocsparse_direction_NS_24const_host_device_scalarIT2_EEPKiS6_PKS3_iiS8_S4_PS3_21rocsparse_index_base_b.has_recursion, 0
	.set _ZN9rocsparseL22gebsrmvn_mxn_16_kernelILj96ELj12ELj8EdEEvi20rocsparse_direction_NS_24const_host_device_scalarIT2_EEPKiS6_PKS3_iiS8_S4_PS3_21rocsparse_index_base_b.has_indirect_call, 0
	.section	.AMDGPU.csdata,"",@progbits
; Kernel info:
; codeLenInByte = 1044
; TotalNumSgprs: 22
; NumVgprs: 17
; ScratchSize: 0
; MemoryBound: 0
; FloatMode: 240
; IeeeMode: 1
; LDSByteSize: 768 bytes/workgroup (compile time only)
; SGPRBlocks: 2
; VGPRBlocks: 4
; NumSGPRsForWavesPerEU: 22
; NumVGPRsForWavesPerEU: 17
; Occupancy: 10
; WaveLimiterHint : 1
; COMPUTE_PGM_RSRC2:SCRATCH_EN: 0
; COMPUTE_PGM_RSRC2:USER_SGPR: 6
; COMPUTE_PGM_RSRC2:TRAP_HANDLER: 0
; COMPUTE_PGM_RSRC2:TGID_X_EN: 1
; COMPUTE_PGM_RSRC2:TGID_Y_EN: 0
; COMPUTE_PGM_RSRC2:TGID_Z_EN: 0
; COMPUTE_PGM_RSRC2:TIDIG_COMP_CNT: 0
	.section	.text._ZN9rocsparseL22gebsrmvn_mxn_16_kernelILj63ELj9ELj1E21rocsparse_complex_numIfEEEvi20rocsparse_direction_NS_24const_host_device_scalarIT2_EEPKiS8_PKS5_iiSA_S6_PS5_21rocsparse_index_base_b,"axG",@progbits,_ZN9rocsparseL22gebsrmvn_mxn_16_kernelILj63ELj9ELj1E21rocsparse_complex_numIfEEEvi20rocsparse_direction_NS_24const_host_device_scalarIT2_EEPKiS8_PKS5_iiSA_S6_PS5_21rocsparse_index_base_b,comdat
	.globl	_ZN9rocsparseL22gebsrmvn_mxn_16_kernelILj63ELj9ELj1E21rocsparse_complex_numIfEEEvi20rocsparse_direction_NS_24const_host_device_scalarIT2_EEPKiS8_PKS5_iiSA_S6_PS5_21rocsparse_index_base_b ; -- Begin function _ZN9rocsparseL22gebsrmvn_mxn_16_kernelILj63ELj9ELj1E21rocsparse_complex_numIfEEEvi20rocsparse_direction_NS_24const_host_device_scalarIT2_EEPKiS8_PKS5_iiSA_S6_PS5_21rocsparse_index_base_b
	.p2align	8
	.type	_ZN9rocsparseL22gebsrmvn_mxn_16_kernelILj63ELj9ELj1E21rocsparse_complex_numIfEEEvi20rocsparse_direction_NS_24const_host_device_scalarIT2_EEPKiS8_PKS5_iiSA_S6_PS5_21rocsparse_index_base_b,@function
_ZN9rocsparseL22gebsrmvn_mxn_16_kernelILj63ELj9ELj1E21rocsparse_complex_numIfEEEvi20rocsparse_direction_NS_24const_host_device_scalarIT2_EEPKiS8_PKS5_iiSA_S6_PS5_21rocsparse_index_base_b: ; @_ZN9rocsparseL22gebsrmvn_mxn_16_kernelILj63ELj9ELj1E21rocsparse_complex_numIfEEEvi20rocsparse_direction_NS_24const_host_device_scalarIT2_EEPKiS8_PKS5_iiSA_S6_PS5_21rocsparse_index_base_b
; %bb.0:
	s_load_dwordx2 s[0:1], s[4:5], 0x8
	s_load_dwordx2 s[2:3], s[4:5], 0x38
	;; [unrolled: 1-line block ×3, first 2 shown]
	s_add_u32 s7, s4, 8
	s_addc_u32 s8, s5, 0
	s_add_u32 s9, s4, 56
	s_addc_u32 s12, s5, 0
	s_waitcnt lgkmcnt(0)
	s_bitcmp1_b32 s11, 0
	s_cselect_b32 s1, s8, s1
	s_cselect_b32 s0, s7, s0
	v_mov_b32_e32 v1, s0
	v_mov_b32_e32 v2, s1
	flat_load_dwordx2 v[3:4], v[1:2]
	s_cselect_b32 s0, s12, s3
	s_cselect_b32 s1, s9, s2
	v_mov_b32_e32 v1, s1
	v_mov_b32_e32 v2, s0
	flat_load_dwordx2 v[1:2], v[1:2]
	s_waitcnt vmcnt(0) lgkmcnt(0)
	v_cmp_eq_f32_e32 vcc, 0, v3
	v_cmp_eq_f32_e64 s[0:1], 0, v4
	s_and_b64 s[8:9], vcc, s[0:1]
	s_mov_b64 s[0:1], -1
	s_and_saveexec_b64 s[2:3], s[8:9]
; %bb.1:
	v_cmp_neq_f32_e32 vcc, 1.0, v1
	v_cmp_neq_f32_e64 s[0:1], 0, v2
	s_or_b64 s[0:1], vcc, s[0:1]
	s_orn2_b64 s[0:1], s[0:1], exec
; %bb.2:
	s_or_b64 exec, exec, s[2:3]
	s_and_saveexec_b64 s[2:3], s[0:1]
	s_cbranch_execz .LBB68_22
; %bb.3:
	s_load_dwordx2 s[0:1], s[4:5], 0x10
	s_ashr_i32 s7, s6, 31
	s_lshl_b64 s[2:3], s[6:7], 2
	s_waitcnt lgkmcnt(0)
	s_add_u32 s0, s0, s2
	s_addc_u32 s1, s1, s3
	s_load_dwordx2 s[14:15], s[0:1], 0x0
	s_waitcnt lgkmcnt(0)
	s_cmp_lt_i32 s14, s15
	s_cbranch_scc1 .LBB68_5
; %bb.4:
	s_mov_b64 s[0:1], 0
	s_branch .LBB68_6
.LBB68_5:
	s_mov_b64 s[0:1], -1
.LBB68_6:
	s_load_dwordx2 s[8:9], s[4:5], 0x40
	v_mov_b32_e32 v6, 0
	s_andn2_b64 vcc, exec, s[0:1]
	v_mov_b32_e32 v5, 0
	s_cbranch_vccnz .LBB68_11
; %bb.7:
	s_load_dwordx4 s[0:3], s[4:5], 0x18
	s_load_dwordx2 s[12:13], s[4:5], 0x30
	v_mad_u64_u32 v[5:6], s[4:5], s14, 9, v[0:1]
	s_mul_i32 s4, s10, 9
	v_mov_b32_e32 v8, 0
	s_sub_i32 s7, s15, s10
	s_sub_i32 s11, s14, s10
	v_mul_u32_u24_e32 v11, 0x1c72, v0
	v_subrev_u32_e32 v7, s4, v5
	v_mov_b32_e32 v6, v8
	v_mov_b32_e32 v5, v8
	s_branch .LBB68_9
.LBB68_8:                               ;   in Loop: Header=BB68_9 Depth=1
	s_or_b64 exec, exec, s[4:5]
	s_add_i32 s11, s11, 7
	s_cmp_ge_i32 s11, s7
	v_add_u32_e32 v7, 63, v7
	s_cbranch_scc1 .LBB68_11
.LBB68_9:                               ; =>This Inner Loop Header: Depth=1
	v_add_u32_sdwa v9, v11, s11 dst_sel:DWORD dst_unused:UNUSED_PAD src0_sel:WORD_1 src1_sel:DWORD
	v_cmp_gt_i32_e32 vcc, s7, v9
	s_and_saveexec_b64 s[4:5], vcc
	s_cbranch_execz .LBB68_8
; %bb.10:                               ;   in Loop: Header=BB68_9 Depth=1
	v_ashrrev_i32_e32 v10, 31, v9
	v_lshlrev_b64 v[9:10], 2, v[9:10]
	s_waitcnt lgkmcnt(0)
	v_mov_b32_e32 v12, s1
	v_add_co_u32_e32 v9, vcc, s0, v9
	v_addc_co_u32_e32 v10, vcc, v12, v10, vcc
	global_load_dword v12, v[9:10], off
	v_lshlrev_b64 v[9:10], 3, v[7:8]
	v_mov_b32_e32 v13, s3
	v_add_co_u32_e32 v9, vcc, s2, v9
	v_addc_co_u32_e32 v10, vcc, v13, v10, vcc
	v_mov_b32_e32 v14, s13
	global_load_dwordx2 v[9:10], v[9:10], off
	s_waitcnt vmcnt(1)
	v_subrev_u32_e32 v12, s10, v12
	v_ashrrev_i32_e32 v13, 31, v12
	v_lshlrev_b64 v[12:13], 3, v[12:13]
	v_add_co_u32_e32 v12, vcc, s12, v12
	v_addc_co_u32_e32 v13, vcc, v14, v13, vcc
	global_load_dwordx2 v[12:13], v[12:13], off
	s_waitcnt vmcnt(0)
	v_fmac_f32_e32 v5, v9, v12
	v_fmac_f32_e32 v6, v10, v12
	v_fma_f32 v5, -v10, v13, v5
	v_fmac_f32_e32 v6, v9, v13
	s_branch .LBB68_8
.LBB68_11:
	v_lshlrev_b32_e32 v7, 3, v0
	v_cmp_gt_u32_e32 vcc, 27, v0
	ds_write_b64 v7, v[5:6]
	s_waitcnt lgkmcnt(0)
	; wave barrier
	s_and_saveexec_b64 s[0:1], vcc
	s_cbranch_execz .LBB68_13
; %bb.12:
	ds_read2_b64 v[8:11], v7 offset1:36
	s_waitcnt lgkmcnt(0)
	v_add_f32_e32 v5, v10, v8
	v_add_f32_e32 v6, v11, v9
	ds_write_b64 v7, v[5:6]
.LBB68_13:
	s_or_b64 exec, exec, s[0:1]
	v_cmp_gt_u32_e32 vcc, 18, v0
	s_waitcnt lgkmcnt(0)
	; wave barrier
	s_and_saveexec_b64 s[0:1], vcc
	s_cbranch_execz .LBB68_15
; %bb.14:
	ds_read2_b64 v[8:11], v7 offset1:18
	s_waitcnt lgkmcnt(0)
	v_add_f32_e32 v5, v10, v8
	v_add_f32_e32 v6, v11, v9
	ds_write_b64 v7, v[5:6]
.LBB68_15:
	s_or_b64 exec, exec, s[0:1]
	v_cmp_gt_u32_e32 vcc, 9, v0
	s_waitcnt lgkmcnt(0)
	; wave barrier
	s_and_saveexec_b64 s[0:1], vcc
	s_cbranch_execz .LBB68_17
; %bb.16:
	ds_read2_b64 v[8:11], v7 offset1:9
	s_waitcnt lgkmcnt(0)
	v_add_f32_e32 v5, v10, v8
	v_add_f32_e32 v6, v11, v9
	ds_write_b64 v7, v[5:6]
.LBB68_17:
	s_or_b64 exec, exec, s[0:1]
	s_waitcnt lgkmcnt(0)
	; wave barrier
	s_and_b64 exec, exec, vcc
	s_cbranch_execz .LBB68_22
; %bb.18:
	ds_read_b64 v[7:8], v7
	v_cmp_eq_f32_e32 vcc, 0, v1
	v_cmp_eq_f32_e64 s[0:1], 0, v2
	s_and_b64 s[0:1], vcc, s[0:1]
	s_waitcnt lgkmcnt(0)
	v_mul_f32_e64 v5, v8, -v4
	v_mul_f32_e32 v6, v3, v8
	v_fmac_f32_e32 v5, v3, v7
	v_fmac_f32_e32 v6, v4, v7
	s_and_saveexec_b64 s[2:3], s[0:1]
	s_xor_b64 s[0:1], exec, s[2:3]
	s_cbranch_execz .LBB68_20
; %bb.19:
	v_mad_u64_u32 v[0:1], s[2:3], s6, 9, v[0:1]
	v_mov_b32_e32 v1, 0
	v_mov_b32_e32 v2, s9
	v_lshlrev_b64 v[0:1], 3, v[0:1]
	v_add_co_u32_e32 v0, vcc, s8, v0
	v_addc_co_u32_e32 v1, vcc, v2, v1, vcc
	global_store_dwordx2 v[0:1], v[5:6], off
                                        ; implicit-def: $vgpr0
                                        ; implicit-def: $vgpr1_vgpr2
                                        ; implicit-def: $vgpr5
.LBB68_20:
	s_andn2_saveexec_b64 s[0:1], s[0:1]
	s_cbranch_execz .LBB68_22
; %bb.21:
	v_mad_u64_u32 v[3:4], s[0:1], s6, 9, v[0:1]
	v_mov_b32_e32 v4, 0
	v_mov_b32_e32 v0, s9
	v_lshlrev_b64 v[3:4], 3, v[3:4]
	v_add_co_u32_e32 v3, vcc, s8, v3
	v_addc_co_u32_e32 v4, vcc, v0, v4, vcc
	global_load_dwordx2 v[7:8], v[3:4], off
	s_waitcnt vmcnt(0)
	v_fmac_f32_e32 v5, v1, v7
	v_fmac_f32_e32 v6, v2, v7
	v_fma_f32 v5, -v2, v8, v5
	v_fmac_f32_e32 v6, v1, v8
	global_store_dwordx2 v[3:4], v[5:6], off
.LBB68_22:
	s_endpgm
	.section	.rodata,"a",@progbits
	.p2align	6, 0x0
	.amdhsa_kernel _ZN9rocsparseL22gebsrmvn_mxn_16_kernelILj63ELj9ELj1E21rocsparse_complex_numIfEEEvi20rocsparse_direction_NS_24const_host_device_scalarIT2_EEPKiS8_PKS5_iiSA_S6_PS5_21rocsparse_index_base_b
		.amdhsa_group_segment_fixed_size 504
		.amdhsa_private_segment_fixed_size 0
		.amdhsa_kernarg_size 80
		.amdhsa_user_sgpr_count 6
		.amdhsa_user_sgpr_private_segment_buffer 1
		.amdhsa_user_sgpr_dispatch_ptr 0
		.amdhsa_user_sgpr_queue_ptr 0
		.amdhsa_user_sgpr_kernarg_segment_ptr 1
		.amdhsa_user_sgpr_dispatch_id 0
		.amdhsa_user_sgpr_flat_scratch_init 0
		.amdhsa_user_sgpr_private_segment_size 0
		.amdhsa_uses_dynamic_stack 0
		.amdhsa_system_sgpr_private_segment_wavefront_offset 0
		.amdhsa_system_sgpr_workgroup_id_x 1
		.amdhsa_system_sgpr_workgroup_id_y 0
		.amdhsa_system_sgpr_workgroup_id_z 0
		.amdhsa_system_sgpr_workgroup_info 0
		.amdhsa_system_vgpr_workitem_id 0
		.amdhsa_next_free_vgpr 15
		.amdhsa_next_free_sgpr 16
		.amdhsa_reserve_vcc 1
		.amdhsa_reserve_flat_scratch 0
		.amdhsa_float_round_mode_32 0
		.amdhsa_float_round_mode_16_64 0
		.amdhsa_float_denorm_mode_32 3
		.amdhsa_float_denorm_mode_16_64 3
		.amdhsa_dx10_clamp 1
		.amdhsa_ieee_mode 1
		.amdhsa_fp16_overflow 0
		.amdhsa_exception_fp_ieee_invalid_op 0
		.amdhsa_exception_fp_denorm_src 0
		.amdhsa_exception_fp_ieee_div_zero 0
		.amdhsa_exception_fp_ieee_overflow 0
		.amdhsa_exception_fp_ieee_underflow 0
		.amdhsa_exception_fp_ieee_inexact 0
		.amdhsa_exception_int_div_zero 0
	.end_amdhsa_kernel
	.section	.text._ZN9rocsparseL22gebsrmvn_mxn_16_kernelILj63ELj9ELj1E21rocsparse_complex_numIfEEEvi20rocsparse_direction_NS_24const_host_device_scalarIT2_EEPKiS8_PKS5_iiSA_S6_PS5_21rocsparse_index_base_b,"axG",@progbits,_ZN9rocsparseL22gebsrmvn_mxn_16_kernelILj63ELj9ELj1E21rocsparse_complex_numIfEEEvi20rocsparse_direction_NS_24const_host_device_scalarIT2_EEPKiS8_PKS5_iiSA_S6_PS5_21rocsparse_index_base_b,comdat
.Lfunc_end68:
	.size	_ZN9rocsparseL22gebsrmvn_mxn_16_kernelILj63ELj9ELj1E21rocsparse_complex_numIfEEEvi20rocsparse_direction_NS_24const_host_device_scalarIT2_EEPKiS8_PKS5_iiSA_S6_PS5_21rocsparse_index_base_b, .Lfunc_end68-_ZN9rocsparseL22gebsrmvn_mxn_16_kernelILj63ELj9ELj1E21rocsparse_complex_numIfEEEvi20rocsparse_direction_NS_24const_host_device_scalarIT2_EEPKiS8_PKS5_iiSA_S6_PS5_21rocsparse_index_base_b
                                        ; -- End function
	.set _ZN9rocsparseL22gebsrmvn_mxn_16_kernelILj63ELj9ELj1E21rocsparse_complex_numIfEEEvi20rocsparse_direction_NS_24const_host_device_scalarIT2_EEPKiS8_PKS5_iiSA_S6_PS5_21rocsparse_index_base_b.num_vgpr, 15
	.set _ZN9rocsparseL22gebsrmvn_mxn_16_kernelILj63ELj9ELj1E21rocsparse_complex_numIfEEEvi20rocsparse_direction_NS_24const_host_device_scalarIT2_EEPKiS8_PKS5_iiSA_S6_PS5_21rocsparse_index_base_b.num_agpr, 0
	.set _ZN9rocsparseL22gebsrmvn_mxn_16_kernelILj63ELj9ELj1E21rocsparse_complex_numIfEEEvi20rocsparse_direction_NS_24const_host_device_scalarIT2_EEPKiS8_PKS5_iiSA_S6_PS5_21rocsparse_index_base_b.numbered_sgpr, 16
	.set _ZN9rocsparseL22gebsrmvn_mxn_16_kernelILj63ELj9ELj1E21rocsparse_complex_numIfEEEvi20rocsparse_direction_NS_24const_host_device_scalarIT2_EEPKiS8_PKS5_iiSA_S6_PS5_21rocsparse_index_base_b.num_named_barrier, 0
	.set _ZN9rocsparseL22gebsrmvn_mxn_16_kernelILj63ELj9ELj1E21rocsparse_complex_numIfEEEvi20rocsparse_direction_NS_24const_host_device_scalarIT2_EEPKiS8_PKS5_iiSA_S6_PS5_21rocsparse_index_base_b.private_seg_size, 0
	.set _ZN9rocsparseL22gebsrmvn_mxn_16_kernelILj63ELj9ELj1E21rocsparse_complex_numIfEEEvi20rocsparse_direction_NS_24const_host_device_scalarIT2_EEPKiS8_PKS5_iiSA_S6_PS5_21rocsparse_index_base_b.uses_vcc, 1
	.set _ZN9rocsparseL22gebsrmvn_mxn_16_kernelILj63ELj9ELj1E21rocsparse_complex_numIfEEEvi20rocsparse_direction_NS_24const_host_device_scalarIT2_EEPKiS8_PKS5_iiSA_S6_PS5_21rocsparse_index_base_b.uses_flat_scratch, 0
	.set _ZN9rocsparseL22gebsrmvn_mxn_16_kernelILj63ELj9ELj1E21rocsparse_complex_numIfEEEvi20rocsparse_direction_NS_24const_host_device_scalarIT2_EEPKiS8_PKS5_iiSA_S6_PS5_21rocsparse_index_base_b.has_dyn_sized_stack, 0
	.set _ZN9rocsparseL22gebsrmvn_mxn_16_kernelILj63ELj9ELj1E21rocsparse_complex_numIfEEEvi20rocsparse_direction_NS_24const_host_device_scalarIT2_EEPKiS8_PKS5_iiSA_S6_PS5_21rocsparse_index_base_b.has_recursion, 0
	.set _ZN9rocsparseL22gebsrmvn_mxn_16_kernelILj63ELj9ELj1E21rocsparse_complex_numIfEEEvi20rocsparse_direction_NS_24const_host_device_scalarIT2_EEPKiS8_PKS5_iiSA_S6_PS5_21rocsparse_index_base_b.has_indirect_call, 0
	.section	.AMDGPU.csdata,"",@progbits
; Kernel info:
; codeLenInByte = 828
; TotalNumSgprs: 20
; NumVgprs: 15
; ScratchSize: 0
; MemoryBound: 0
; FloatMode: 240
; IeeeMode: 1
; LDSByteSize: 504 bytes/workgroup (compile time only)
; SGPRBlocks: 2
; VGPRBlocks: 3
; NumSGPRsForWavesPerEU: 20
; NumVGPRsForWavesPerEU: 15
; Occupancy: 10
; WaveLimiterHint : 1
; COMPUTE_PGM_RSRC2:SCRATCH_EN: 0
; COMPUTE_PGM_RSRC2:USER_SGPR: 6
; COMPUTE_PGM_RSRC2:TRAP_HANDLER: 0
; COMPUTE_PGM_RSRC2:TGID_X_EN: 1
; COMPUTE_PGM_RSRC2:TGID_Y_EN: 0
; COMPUTE_PGM_RSRC2:TGID_Z_EN: 0
; COMPUTE_PGM_RSRC2:TIDIG_COMP_CNT: 0
	.section	.text._ZN9rocsparseL22gebsrmvn_mxn_16_kernelILj54ELj9ELj2E21rocsparse_complex_numIfEEEvi20rocsparse_direction_NS_24const_host_device_scalarIT2_EEPKiS8_PKS5_iiSA_S6_PS5_21rocsparse_index_base_b,"axG",@progbits,_ZN9rocsparseL22gebsrmvn_mxn_16_kernelILj54ELj9ELj2E21rocsparse_complex_numIfEEEvi20rocsparse_direction_NS_24const_host_device_scalarIT2_EEPKiS8_PKS5_iiSA_S6_PS5_21rocsparse_index_base_b,comdat
	.globl	_ZN9rocsparseL22gebsrmvn_mxn_16_kernelILj54ELj9ELj2E21rocsparse_complex_numIfEEEvi20rocsparse_direction_NS_24const_host_device_scalarIT2_EEPKiS8_PKS5_iiSA_S6_PS5_21rocsparse_index_base_b ; -- Begin function _ZN9rocsparseL22gebsrmvn_mxn_16_kernelILj54ELj9ELj2E21rocsparse_complex_numIfEEEvi20rocsparse_direction_NS_24const_host_device_scalarIT2_EEPKiS8_PKS5_iiSA_S6_PS5_21rocsparse_index_base_b
	.p2align	8
	.type	_ZN9rocsparseL22gebsrmvn_mxn_16_kernelILj54ELj9ELj2E21rocsparse_complex_numIfEEEvi20rocsparse_direction_NS_24const_host_device_scalarIT2_EEPKiS8_PKS5_iiSA_S6_PS5_21rocsparse_index_base_b,@function
_ZN9rocsparseL22gebsrmvn_mxn_16_kernelILj54ELj9ELj2E21rocsparse_complex_numIfEEEvi20rocsparse_direction_NS_24const_host_device_scalarIT2_EEPKiS8_PKS5_iiSA_S6_PS5_21rocsparse_index_base_b: ; @_ZN9rocsparseL22gebsrmvn_mxn_16_kernelILj54ELj9ELj2E21rocsparse_complex_numIfEEEvi20rocsparse_direction_NS_24const_host_device_scalarIT2_EEPKiS8_PKS5_iiSA_S6_PS5_21rocsparse_index_base_b
; %bb.0:
	s_load_dwordx2 s[0:1], s[4:5], 0x8
	s_load_dwordx2 s[2:3], s[4:5], 0x38
	s_load_dwordx2 s[12:13], s[4:5], 0x48
	s_add_u32 s7, s4, 8
	s_addc_u32 s8, s5, 0
	s_add_u32 s9, s4, 56
	s_addc_u32 s10, s5, 0
	s_waitcnt lgkmcnt(0)
	s_bitcmp1_b32 s13, 0
	s_cselect_b32 s1, s8, s1
	s_cselect_b32 s0, s7, s0
	v_mov_b32_e32 v1, s0
	v_mov_b32_e32 v2, s1
	flat_load_dwordx2 v[3:4], v[1:2]
	s_cselect_b32 s0, s10, s3
	s_cselect_b32 s1, s9, s2
	v_mov_b32_e32 v1, s1
	v_mov_b32_e32 v2, s0
	flat_load_dwordx2 v[1:2], v[1:2]
	s_waitcnt vmcnt(0) lgkmcnt(0)
	v_cmp_eq_f32_e32 vcc, 0, v3
	v_cmp_eq_f32_e64 s[0:1], 0, v4
	s_and_b64 s[8:9], vcc, s[0:1]
	s_mov_b64 s[0:1], -1
	s_and_saveexec_b64 s[2:3], s[8:9]
; %bb.1:
	v_cmp_neq_f32_e32 vcc, 1.0, v1
	v_cmp_neq_f32_e64 s[0:1], 0, v2
	s_or_b64 s[0:1], vcc, s[0:1]
	s_orn2_b64 s[0:1], s[0:1], exec
; %bb.2:
	s_or_b64 exec, exec, s[2:3]
	s_and_saveexec_b64 s[2:3], s[0:1]
	s_cbranch_execz .LBB69_31
; %bb.3:
	s_load_dword s2, s[4:5], 0x4
	s_load_dwordx2 s[0:1], s[4:5], 0x10
	v_and_b32_e32 v11, 1, v0
	v_mov_b32_e32 v12, v11
	s_waitcnt lgkmcnt(0)
	s_cmp_lg_u32 s2, 1
	s_cselect_b64 s[10:11], -1, 0
	s_and_b64 vcc, exec, s[10:11]
	s_cbranch_vccnz .LBB69_5
; %bb.4:
	v_mul_u32_u24_e32 v5, 0x1c72, v0
	v_bfe_u32 v12, v5, 16, 1
.LBB69_5:
	s_ashr_i32 s7, s6, 31
	s_lshl_b64 s[2:3], s[6:7], 2
	s_add_u32 s0, s0, s2
	s_addc_u32 s1, s1, s3
	s_load_dwordx2 s[16:17], s[0:1], 0x0
	s_load_dwordx2 s[8:9], s[4:5], 0x40
	v_mov_b32_e32 v6, 0
	v_mov_b32_e32 v5, 0
	s_waitcnt lgkmcnt(0)
	s_cmp_ge_i32 s16, s17
	s_cbranch_scc1 .LBB69_10
; %bb.6:
	s_load_dwordx4 s[0:3], s[4:5], 0x18
	s_load_dwordx2 s[14:15], s[4:5], 0x30
	v_mad_u64_u32 v[5:6], s[4:5], s16, 18, v[0:1]
	s_mul_i32 s4, s12, 18
	v_mov_b32_e32 v8, 0
	s_sub_i32 s7, s17, s12
	s_sub_i32 s13, s16, s12
	v_mul_u32_u24_e32 v13, 0xe39, v0
	v_subrev_u32_e32 v7, s4, v5
	v_mov_b32_e32 v6, v8
	v_mov_b32_e32 v5, v8
	s_branch .LBB69_8
.LBB69_7:                               ;   in Loop: Header=BB69_8 Depth=1
	s_or_b64 exec, exec, s[4:5]
	s_add_i32 s13, s13, 3
	s_cmp_ge_i32 s13, s7
	v_add_u32_e32 v7, 54, v7
	s_cbranch_scc1 .LBB69_10
.LBB69_8:                               ; =>This Inner Loop Header: Depth=1
	v_add_u32_sdwa v9, v13, s13 dst_sel:DWORD dst_unused:UNUSED_PAD src0_sel:WORD_1 src1_sel:DWORD
	v_cmp_gt_i32_e32 vcc, s7, v9
	s_and_saveexec_b64 s[4:5], vcc
	s_cbranch_execz .LBB69_7
; %bb.9:                                ;   in Loop: Header=BB69_8 Depth=1
	v_ashrrev_i32_e32 v10, 31, v9
	v_lshlrev_b64 v[9:10], 2, v[9:10]
	s_waitcnt lgkmcnt(0)
	v_mov_b32_e32 v14, s1
	v_add_co_u32_e32 v9, vcc, s0, v9
	v_addc_co_u32_e32 v10, vcc, v14, v10, vcc
	global_load_dword v14, v[9:10], off
	v_lshlrev_b64 v[9:10], 3, v[7:8]
	v_mov_b32_e32 v15, s3
	v_add_co_u32_e32 v9, vcc, s2, v9
	v_addc_co_u32_e32 v10, vcc, v15, v10, vcc
	v_mov_b32_e32 v16, s15
	global_load_dwordx2 v[9:10], v[9:10], off
	s_waitcnt vmcnt(1)
	v_subrev_u32_e32 v14, s12, v14
	v_lshl_or_b32 v14, v14, 1, v12
	v_ashrrev_i32_e32 v15, 31, v14
	v_lshlrev_b64 v[14:15], 3, v[14:15]
	v_add_co_u32_e32 v14, vcc, s14, v14
	v_addc_co_u32_e32 v15, vcc, v16, v15, vcc
	global_load_dwordx2 v[14:15], v[14:15], off
	s_waitcnt vmcnt(0)
	v_fmac_f32_e32 v5, v9, v14
	v_fmac_f32_e32 v6, v10, v14
	v_fma_f32 v5, -v10, v15, v5
	v_fmac_f32_e32 v6, v9, v15
	s_branch .LBB69_7
.LBB69_10:
	v_lshlrev_b32_e32 v9, 3, v0
	v_cmp_gt_u32_e32 vcc, 18, v0
	ds_write_b64 v9, v[5:6]
	s_waitcnt lgkmcnt(0)
	; wave barrier
	s_and_saveexec_b64 s[0:1], vcc
	s_cbranch_execz .LBB69_12
; %bb.11:
	ds_read2_b64 v[12:15], v9 offset1:36
	s_waitcnt lgkmcnt(0)
	v_add_f32_e32 v7, v14, v12
	v_add_f32_e32 v8, v15, v13
	ds_write_b64 v9, v[7:8]
.LBB69_12:
	s_or_b64 exec, exec, s[0:1]
	s_waitcnt lgkmcnt(0)
	; wave barrier
	s_and_saveexec_b64 s[0:1], vcc
	s_cbranch_execz .LBB69_14
; %bb.13:
	ds_read2_b64 v[12:15], v9 offset1:18
	s_waitcnt lgkmcnt(0)
	v_add_f32_e32 v7, v14, v12
	v_add_f32_e32 v8, v15, v13
	ds_write_b64 v9, v[7:8]
.LBB69_14:
	s_or_b64 exec, exec, s[0:1]
	s_and_b64 vcc, exec, s[10:11]
	s_waitcnt lgkmcnt(0)
	; wave barrier
	s_cbranch_vccz .LBB69_20
; %bb.15:
	v_cmp_eq_u32_e32 vcc, 0, v11
	s_and_saveexec_b64 s[0:1], vcc
	s_cbranch_execz .LBB69_17
; %bb.16:
	ds_read2_b64 v[10:13], v9 offset1:1
	s_waitcnt lgkmcnt(0)
	v_add_f32_e32 v7, v12, v10
	v_add_f32_e32 v8, v13, v11
	ds_write_b64 v9, v[7:8]
.LBB69_17:
	s_or_b64 exec, exec, s[0:1]
	v_cmp_gt_u32_e32 vcc, 9, v0
	v_mov_b32_e32 v8, v6
	v_mov_b32_e32 v7, v5
	s_waitcnt lgkmcnt(0)
	; wave barrier
	s_and_saveexec_b64 s[0:1], vcc
; %bb.18:
	v_lshl_add_u32 v7, v0, 3, v9
	ds_read_b64 v[7:8], v7
; %bb.19:
	s_or_b64 exec, exec, s[0:1]
	s_branch .LBB69_26
.LBB69_20:
                                        ; implicit-def: $vgpr8
	s_cbranch_execz .LBB69_26
; %bb.21:
	v_cmp_lt_u32_e32 vcc, 8, v0
	s_and_saveexec_b64 s[0:1], vcc
	s_xor_b64 s[0:1], exec, s[0:1]
	s_cbranch_execz .LBB69_23
; %bb.22:
	s_waitcnt lgkmcnt(0)
                                        ; implicit-def: $vgpr9
.LBB69_23:
	s_andn2_saveexec_b64 s[0:1], s[0:1]
	s_cbranch_execz .LBB69_25
; %bb.24:
	s_waitcnt lgkmcnt(0)
	ds_read2_b64 v[5:8], v9 offset1:9
	s_waitcnt lgkmcnt(0)
	v_add_f32_e32 v5, v7, v5
	v_add_f32_e32 v6, v8, v6
	ds_write_b64 v9, v[5:6]
	s_waitcnt lgkmcnt(0)
	ds_read_b64 v[5:6], v9
.LBB69_25:
	s_or_b64 exec, exec, s[0:1]
	s_waitcnt lgkmcnt(0)
	v_mov_b32_e32 v7, v5
	v_mov_b32_e32 v8, v6
.LBB69_26:
	v_cmp_gt_u32_e32 vcc, 9, v0
	s_and_b64 exec, exec, vcc
	s_cbranch_execz .LBB69_31
; %bb.27:
	v_cmp_eq_f32_e32 vcc, 0, v1
	v_cmp_eq_f32_e64 s[0:1], 0, v2
	s_waitcnt lgkmcnt(0)
	v_mul_f32_e64 v5, v8, -v4
	v_mul_f32_e32 v6, v3, v8
	s_and_b64 s[0:1], vcc, s[0:1]
	v_fmac_f32_e32 v5, v3, v7
	v_fmac_f32_e32 v6, v4, v7
	s_and_saveexec_b64 s[2:3], s[0:1]
	s_xor_b64 s[0:1], exec, s[2:3]
	s_cbranch_execz .LBB69_29
; %bb.28:
	v_mad_u64_u32 v[0:1], s[2:3], s6, 9, v[0:1]
	v_mov_b32_e32 v1, 0
	v_mov_b32_e32 v2, s9
	v_lshlrev_b64 v[0:1], 3, v[0:1]
	v_add_co_u32_e32 v0, vcc, s8, v0
	v_addc_co_u32_e32 v1, vcc, v2, v1, vcc
	global_store_dwordx2 v[0:1], v[5:6], off
                                        ; implicit-def: $vgpr0
                                        ; implicit-def: $vgpr1_vgpr2
                                        ; implicit-def: $vgpr5
.LBB69_29:
	s_andn2_saveexec_b64 s[0:1], s[0:1]
	s_cbranch_execz .LBB69_31
; %bb.30:
	v_mad_u64_u32 v[3:4], s[0:1], s6, 9, v[0:1]
	v_mov_b32_e32 v4, 0
	v_mov_b32_e32 v0, s9
	v_lshlrev_b64 v[3:4], 3, v[3:4]
	v_add_co_u32_e32 v3, vcc, s8, v3
	v_addc_co_u32_e32 v4, vcc, v0, v4, vcc
	global_load_dwordx2 v[7:8], v[3:4], off
	s_waitcnt vmcnt(0)
	v_fmac_f32_e32 v5, v1, v7
	v_fmac_f32_e32 v6, v2, v7
	v_fma_f32 v5, -v2, v8, v5
	v_fmac_f32_e32 v6, v1, v8
	global_store_dwordx2 v[3:4], v[5:6], off
.LBB69_31:
	s_endpgm
	.section	.rodata,"a",@progbits
	.p2align	6, 0x0
	.amdhsa_kernel _ZN9rocsparseL22gebsrmvn_mxn_16_kernelILj54ELj9ELj2E21rocsparse_complex_numIfEEEvi20rocsparse_direction_NS_24const_host_device_scalarIT2_EEPKiS8_PKS5_iiSA_S6_PS5_21rocsparse_index_base_b
		.amdhsa_group_segment_fixed_size 432
		.amdhsa_private_segment_fixed_size 0
		.amdhsa_kernarg_size 80
		.amdhsa_user_sgpr_count 6
		.amdhsa_user_sgpr_private_segment_buffer 1
		.amdhsa_user_sgpr_dispatch_ptr 0
		.amdhsa_user_sgpr_queue_ptr 0
		.amdhsa_user_sgpr_kernarg_segment_ptr 1
		.amdhsa_user_sgpr_dispatch_id 0
		.amdhsa_user_sgpr_flat_scratch_init 0
		.amdhsa_user_sgpr_private_segment_size 0
		.amdhsa_uses_dynamic_stack 0
		.amdhsa_system_sgpr_private_segment_wavefront_offset 0
		.amdhsa_system_sgpr_workgroup_id_x 1
		.amdhsa_system_sgpr_workgroup_id_y 0
		.amdhsa_system_sgpr_workgroup_id_z 0
		.amdhsa_system_sgpr_workgroup_info 0
		.amdhsa_system_vgpr_workitem_id 0
		.amdhsa_next_free_vgpr 17
		.amdhsa_next_free_sgpr 18
		.amdhsa_reserve_vcc 1
		.amdhsa_reserve_flat_scratch 0
		.amdhsa_float_round_mode_32 0
		.amdhsa_float_round_mode_16_64 0
		.amdhsa_float_denorm_mode_32 3
		.amdhsa_float_denorm_mode_16_64 3
		.amdhsa_dx10_clamp 1
		.amdhsa_ieee_mode 1
		.amdhsa_fp16_overflow 0
		.amdhsa_exception_fp_ieee_invalid_op 0
		.amdhsa_exception_fp_denorm_src 0
		.amdhsa_exception_fp_ieee_div_zero 0
		.amdhsa_exception_fp_ieee_overflow 0
		.amdhsa_exception_fp_ieee_underflow 0
		.amdhsa_exception_fp_ieee_inexact 0
		.amdhsa_exception_int_div_zero 0
	.end_amdhsa_kernel
	.section	.text._ZN9rocsparseL22gebsrmvn_mxn_16_kernelILj54ELj9ELj2E21rocsparse_complex_numIfEEEvi20rocsparse_direction_NS_24const_host_device_scalarIT2_EEPKiS8_PKS5_iiSA_S6_PS5_21rocsparse_index_base_b,"axG",@progbits,_ZN9rocsparseL22gebsrmvn_mxn_16_kernelILj54ELj9ELj2E21rocsparse_complex_numIfEEEvi20rocsparse_direction_NS_24const_host_device_scalarIT2_EEPKiS8_PKS5_iiSA_S6_PS5_21rocsparse_index_base_b,comdat
.Lfunc_end69:
	.size	_ZN9rocsparseL22gebsrmvn_mxn_16_kernelILj54ELj9ELj2E21rocsparse_complex_numIfEEEvi20rocsparse_direction_NS_24const_host_device_scalarIT2_EEPKiS8_PKS5_iiSA_S6_PS5_21rocsparse_index_base_b, .Lfunc_end69-_ZN9rocsparseL22gebsrmvn_mxn_16_kernelILj54ELj9ELj2E21rocsparse_complex_numIfEEEvi20rocsparse_direction_NS_24const_host_device_scalarIT2_EEPKiS8_PKS5_iiSA_S6_PS5_21rocsparse_index_base_b
                                        ; -- End function
	.set _ZN9rocsparseL22gebsrmvn_mxn_16_kernelILj54ELj9ELj2E21rocsparse_complex_numIfEEEvi20rocsparse_direction_NS_24const_host_device_scalarIT2_EEPKiS8_PKS5_iiSA_S6_PS5_21rocsparse_index_base_b.num_vgpr, 17
	.set _ZN9rocsparseL22gebsrmvn_mxn_16_kernelILj54ELj9ELj2E21rocsparse_complex_numIfEEEvi20rocsparse_direction_NS_24const_host_device_scalarIT2_EEPKiS8_PKS5_iiSA_S6_PS5_21rocsparse_index_base_b.num_agpr, 0
	.set _ZN9rocsparseL22gebsrmvn_mxn_16_kernelILj54ELj9ELj2E21rocsparse_complex_numIfEEEvi20rocsparse_direction_NS_24const_host_device_scalarIT2_EEPKiS8_PKS5_iiSA_S6_PS5_21rocsparse_index_base_b.numbered_sgpr, 18
	.set _ZN9rocsparseL22gebsrmvn_mxn_16_kernelILj54ELj9ELj2E21rocsparse_complex_numIfEEEvi20rocsparse_direction_NS_24const_host_device_scalarIT2_EEPKiS8_PKS5_iiSA_S6_PS5_21rocsparse_index_base_b.num_named_barrier, 0
	.set _ZN9rocsparseL22gebsrmvn_mxn_16_kernelILj54ELj9ELj2E21rocsparse_complex_numIfEEEvi20rocsparse_direction_NS_24const_host_device_scalarIT2_EEPKiS8_PKS5_iiSA_S6_PS5_21rocsparse_index_base_b.private_seg_size, 0
	.set _ZN9rocsparseL22gebsrmvn_mxn_16_kernelILj54ELj9ELj2E21rocsparse_complex_numIfEEEvi20rocsparse_direction_NS_24const_host_device_scalarIT2_EEPKiS8_PKS5_iiSA_S6_PS5_21rocsparse_index_base_b.uses_vcc, 1
	.set _ZN9rocsparseL22gebsrmvn_mxn_16_kernelILj54ELj9ELj2E21rocsparse_complex_numIfEEEvi20rocsparse_direction_NS_24const_host_device_scalarIT2_EEPKiS8_PKS5_iiSA_S6_PS5_21rocsparse_index_base_b.uses_flat_scratch, 0
	.set _ZN9rocsparseL22gebsrmvn_mxn_16_kernelILj54ELj9ELj2E21rocsparse_complex_numIfEEEvi20rocsparse_direction_NS_24const_host_device_scalarIT2_EEPKiS8_PKS5_iiSA_S6_PS5_21rocsparse_index_base_b.has_dyn_sized_stack, 0
	.set _ZN9rocsparseL22gebsrmvn_mxn_16_kernelILj54ELj9ELj2E21rocsparse_complex_numIfEEEvi20rocsparse_direction_NS_24const_host_device_scalarIT2_EEPKiS8_PKS5_iiSA_S6_PS5_21rocsparse_index_base_b.has_recursion, 0
	.set _ZN9rocsparseL22gebsrmvn_mxn_16_kernelILj54ELj9ELj2E21rocsparse_complex_numIfEEEvi20rocsparse_direction_NS_24const_host_device_scalarIT2_EEPKiS8_PKS5_iiSA_S6_PS5_21rocsparse_index_base_b.has_indirect_call, 0
	.section	.AMDGPU.csdata,"",@progbits
; Kernel info:
; codeLenInByte = 996
; TotalNumSgprs: 22
; NumVgprs: 17
; ScratchSize: 0
; MemoryBound: 0
; FloatMode: 240
; IeeeMode: 1
; LDSByteSize: 432 bytes/workgroup (compile time only)
; SGPRBlocks: 2
; VGPRBlocks: 4
; NumSGPRsForWavesPerEU: 22
; NumVGPRsForWavesPerEU: 17
; Occupancy: 10
; WaveLimiterHint : 1
; COMPUTE_PGM_RSRC2:SCRATCH_EN: 0
; COMPUTE_PGM_RSRC2:USER_SGPR: 6
; COMPUTE_PGM_RSRC2:TRAP_HANDLER: 0
; COMPUTE_PGM_RSRC2:TGID_X_EN: 1
; COMPUTE_PGM_RSRC2:TGID_Y_EN: 0
; COMPUTE_PGM_RSRC2:TGID_Z_EN: 0
; COMPUTE_PGM_RSRC2:TIDIG_COMP_CNT: 0
	.section	.text._ZN9rocsparseL22gebsrmvn_mxn_16_kernelILj54ELj9ELj3E21rocsparse_complex_numIfEEEvi20rocsparse_direction_NS_24const_host_device_scalarIT2_EEPKiS8_PKS5_iiSA_S6_PS5_21rocsparse_index_base_b,"axG",@progbits,_ZN9rocsparseL22gebsrmvn_mxn_16_kernelILj54ELj9ELj3E21rocsparse_complex_numIfEEEvi20rocsparse_direction_NS_24const_host_device_scalarIT2_EEPKiS8_PKS5_iiSA_S6_PS5_21rocsparse_index_base_b,comdat
	.globl	_ZN9rocsparseL22gebsrmvn_mxn_16_kernelILj54ELj9ELj3E21rocsparse_complex_numIfEEEvi20rocsparse_direction_NS_24const_host_device_scalarIT2_EEPKiS8_PKS5_iiSA_S6_PS5_21rocsparse_index_base_b ; -- Begin function _ZN9rocsparseL22gebsrmvn_mxn_16_kernelILj54ELj9ELj3E21rocsparse_complex_numIfEEEvi20rocsparse_direction_NS_24const_host_device_scalarIT2_EEPKiS8_PKS5_iiSA_S6_PS5_21rocsparse_index_base_b
	.p2align	8
	.type	_ZN9rocsparseL22gebsrmvn_mxn_16_kernelILj54ELj9ELj3E21rocsparse_complex_numIfEEEvi20rocsparse_direction_NS_24const_host_device_scalarIT2_EEPKiS8_PKS5_iiSA_S6_PS5_21rocsparse_index_base_b,@function
_ZN9rocsparseL22gebsrmvn_mxn_16_kernelILj54ELj9ELj3E21rocsparse_complex_numIfEEEvi20rocsparse_direction_NS_24const_host_device_scalarIT2_EEPKiS8_PKS5_iiSA_S6_PS5_21rocsparse_index_base_b: ; @_ZN9rocsparseL22gebsrmvn_mxn_16_kernelILj54ELj9ELj3E21rocsparse_complex_numIfEEEvi20rocsparse_direction_NS_24const_host_device_scalarIT2_EEPKiS8_PKS5_iiSA_S6_PS5_21rocsparse_index_base_b
; %bb.0:
	s_load_dwordx2 s[0:1], s[4:5], 0x8
	s_load_dwordx2 s[2:3], s[4:5], 0x38
	;; [unrolled: 1-line block ×3, first 2 shown]
	s_add_u32 s7, s4, 8
	s_addc_u32 s8, s5, 0
	s_add_u32 s9, s4, 56
	s_addc_u32 s12, s5, 0
	s_waitcnt lgkmcnt(0)
	s_bitcmp1_b32 s11, 0
	s_cselect_b32 s1, s8, s1
	s_cselect_b32 s0, s7, s0
	v_mov_b32_e32 v1, s0
	v_mov_b32_e32 v2, s1
	flat_load_dwordx2 v[3:4], v[1:2]
	s_cselect_b32 s0, s12, s3
	s_cselect_b32 s1, s9, s2
	v_mov_b32_e32 v1, s1
	v_mov_b32_e32 v2, s0
	flat_load_dwordx2 v[1:2], v[1:2]
	s_waitcnt vmcnt(0) lgkmcnt(0)
	v_cmp_eq_f32_e32 vcc, 0, v3
	v_cmp_eq_f32_e64 s[0:1], 0, v4
	s_and_b64 s[8:9], vcc, s[0:1]
	s_mov_b64 s[0:1], -1
	s_and_saveexec_b64 s[2:3], s[8:9]
; %bb.1:
	v_cmp_neq_f32_e32 vcc, 1.0, v1
	v_cmp_neq_f32_e64 s[0:1], 0, v2
	s_or_b64 s[0:1], vcc, s[0:1]
	s_orn2_b64 s[0:1], s[0:1], exec
; %bb.2:
	s_or_b64 exec, exec, s[2:3]
	s_and_saveexec_b64 s[2:3], s[0:1]
	s_cbranch_execz .LBB70_33
; %bb.3:
	s_load_dwordx2 s[0:1], s[4:5], 0x10
	s_load_dword s2, s[4:5], 0x4
	v_mul_u32_u24_e32 v6, 0x5556, v0
	v_mov_b32_e32 v5, 3
	v_mul_lo_u16_sdwa v6, v6, v5 dst_sel:DWORD dst_unused:UNUSED_PAD src0_sel:WORD_1 src1_sel:DWORD
	v_sub_u16_e32 v12, v0, v6
	s_waitcnt lgkmcnt(0)
	s_cmp_lg_u32 s2, 1
	s_cselect_b64 s[12:13], -1, 0
	s_and_b64 vcc, exec, s[12:13]
	v_mov_b32_e32 v7, v12
	s_cbranch_vccnz .LBB70_5
; %bb.4:
	s_movk_i32 s2, 0x1c72
	v_mul_u32_u24_sdwa v6, v0, s2 dst_sel:DWORD dst_unused:UNUSED_PAD src0_sel:WORD_0 src1_sel:DWORD
	s_movk_i32 s2, 0x56
	v_mul_lo_u16_sdwa v7, v6, s2 dst_sel:DWORD dst_unused:UNUSED_PAD src0_sel:WORD_1 src1_sel:DWORD
	v_mul_lo_u16_sdwa v5, v7, v5 dst_sel:DWORD dst_unused:UNUSED_PAD src0_sel:BYTE_1 src1_sel:DWORD
	v_sub_u16_sdwa v5, v6, v5 dst_sel:DWORD dst_unused:UNUSED_PAD src0_sel:WORD_1 src1_sel:DWORD
	v_and_b32_e32 v7, 0xff, v5
.LBB70_5:
	s_ashr_i32 s7, s6, 31
	s_lshl_b64 s[2:3], s[6:7], 2
	s_add_u32 s0, s0, s2
	s_addc_u32 s1, s1, s3
	s_load_dwordx2 s[16:17], s[0:1], 0x0
	s_load_dwordx2 s[8:9], s[4:5], 0x40
	v_mov_b32_e32 v6, 0
	v_mov_b32_e32 v5, 0
	s_waitcnt lgkmcnt(0)
	s_cmp_ge_i32 s16, s17
	s_cbranch_scc1 .LBB70_10
; %bb.6:
	s_load_dwordx4 s[0:3], s[4:5], 0x18
	s_load_dwordx2 s[14:15], s[4:5], 0x30
	v_mad_u64_u32 v[5:6], s[4:5], s16, 27, v[0:1]
	s_movk_i32 s4, 0x97c
	v_mul_u32_u24_sdwa v13, v0, s4 dst_sel:DWORD dst_unused:UNUSED_PAD src0_sel:WORD_0 src1_sel:DWORD
	s_mul_i32 s4, s10, 27
	v_mov_b32_e32 v9, 0
	s_sub_i32 s7, s17, s10
	s_sub_i32 s11, s16, s10
	v_subrev_u32_e32 v8, s4, v5
	v_mov_b32_e32 v6, v9
	v_mov_b32_e32 v5, v9
	s_branch .LBB70_8
.LBB70_7:                               ;   in Loop: Header=BB70_8 Depth=1
	s_or_b64 exec, exec, s[4:5]
	s_add_i32 s11, s11, 2
	s_cmp_ge_i32 s11, s7
	v_add_u32_e32 v8, 54, v8
	s_cbranch_scc1 .LBB70_10
.LBB70_8:                               ; =>This Inner Loop Header: Depth=1
	v_add_u32_sdwa v10, v13, s11 dst_sel:DWORD dst_unused:UNUSED_PAD src0_sel:WORD_1 src1_sel:DWORD
	v_cmp_gt_i32_e32 vcc, s7, v10
	s_and_saveexec_b64 s[4:5], vcc
	s_cbranch_execz .LBB70_7
; %bb.9:                                ;   in Loop: Header=BB70_8 Depth=1
	v_ashrrev_i32_e32 v11, 31, v10
	v_lshlrev_b64 v[10:11], 2, v[10:11]
	s_waitcnt lgkmcnt(0)
	v_mov_b32_e32 v14, s1
	v_add_co_u32_e32 v10, vcc, s0, v10
	v_addc_co_u32_e32 v11, vcc, v14, v11, vcc
	global_load_dword v14, v[10:11], off
	v_lshlrev_b64 v[10:11], 3, v[8:9]
	v_mov_b32_e32 v16, s3
	v_add_co_u32_e32 v10, vcc, s2, v10
	v_addc_co_u32_e32 v11, vcc, v16, v11, vcc
	v_mov_b32_e32 v17, s15
	global_load_dwordx2 v[10:11], v[10:11], off
	s_waitcnt vmcnt(1)
	v_subrev_u32_e32 v14, s10, v14
	v_mad_u64_u32 v[14:15], s[16:17], v14, 3, v[7:8]
	v_ashrrev_i32_e32 v15, 31, v14
	v_lshlrev_b64 v[14:15], 3, v[14:15]
	v_add_co_u32_e32 v14, vcc, s14, v14
	v_addc_co_u32_e32 v15, vcc, v17, v15, vcc
	global_load_dwordx2 v[14:15], v[14:15], off
	s_waitcnt vmcnt(0)
	v_fmac_f32_e32 v5, v10, v14
	v_fmac_f32_e32 v6, v11, v14
	v_fma_f32 v5, -v11, v15, v5
	v_fmac_f32_e32 v6, v10, v15
	s_branch .LBB70_7
.LBB70_10:
	v_lshlrev_b32_e32 v9, 3, v0
	v_cmp_gt_u32_e32 vcc, 27, v0
	ds_write_b64 v9, v[5:6]
	s_waitcnt lgkmcnt(0)
	; wave barrier
	s_and_saveexec_b64 s[0:1], vcc
	s_cbranch_execz .LBB70_12
; %bb.11:
	ds_read2_b64 v[13:16], v9 offset1:27
	s_waitcnt lgkmcnt(0)
	v_add_f32_e32 v7, v15, v13
	v_add_f32_e32 v8, v16, v14
	ds_write_b64 v9, v[7:8]
.LBB70_12:
	s_or_b64 exec, exec, s[0:1]
	s_and_b64 vcc, exec, s[12:13]
	s_waitcnt lgkmcnt(0)
	; wave barrier
	s_cbranch_vccz .LBB70_20
; %bb.13:
	v_cmp_eq_u16_e32 vcc, 0, v12
	s_and_saveexec_b64 s[0:1], vcc
	s_cbranch_execz .LBB70_15
; %bb.14:
	ds_read2_b64 v[10:13], v9 offset1:2
	s_waitcnt lgkmcnt(0)
	v_add_f32_e32 v7, v12, v10
	v_add_f32_e32 v8, v13, v11
	ds_write_b64 v9, v[7:8]
.LBB70_15:
	s_or_b64 exec, exec, s[0:1]
	s_waitcnt lgkmcnt(0)
	; wave barrier
	s_and_saveexec_b64 s[0:1], vcc
	s_cbranch_execz .LBB70_17
; %bb.16:
	ds_read2_b64 v[10:13], v9 offset1:1
	s_waitcnt lgkmcnt(0)
	v_add_f32_e32 v7, v12, v10
	v_add_f32_e32 v8, v13, v11
	ds_write_b64 v9, v[7:8]
.LBB70_17:
	s_or_b64 exec, exec, s[0:1]
	v_cmp_gt_u32_e32 vcc, 9, v0
	v_mov_b32_e32 v8, v6
	v_mov_b32_e32 v7, v5
	s_waitcnt lgkmcnt(0)
	; wave barrier
	s_and_saveexec_b64 s[0:1], vcc
; %bb.18:
	v_lshl_add_u32 v7, v0, 4, v9
	ds_read_b64 v[7:8], v7
; %bb.19:
	s_or_b64 exec, exec, s[0:1]
	v_cmp_gt_u32_e64 s[0:1], 9, v0
	s_branch .LBB70_28
.LBB70_20:
                                        ; implicit-def: $vgpr8
	v_cmp_gt_u32_e64 s[0:1], 9, v0
	s_cbranch_execz .LBB70_28
; %bb.21:
	v_cmp_lt_u32_e32 vcc, 8, v0
	s_and_saveexec_b64 s[2:3], s[0:1]
	s_cbranch_execz .LBB70_23
; %bb.22:
	ds_read2_b64 v[10:13], v9 offset1:18
	s_waitcnt lgkmcnt(0)
	v_add_f32_e32 v7, v12, v10
	v_add_f32_e32 v8, v13, v11
	ds_write_b64 v9, v[7:8]
.LBB70_23:
	s_or_b64 exec, exec, s[2:3]
	s_waitcnt lgkmcnt(0)
	; wave barrier
	s_and_saveexec_b64 s[0:1], vcc
	s_xor_b64 s[0:1], exec, s[0:1]
; %bb.24:
                                        ; implicit-def: $vgpr9
; %bb.25:
	s_andn2_saveexec_b64 s[0:1], s[0:1]
	s_cbranch_execz .LBB70_27
; %bb.26:
	ds_read2_b64 v[5:8], v9 offset1:9
	s_waitcnt lgkmcnt(0)
	v_add_f32_e32 v5, v7, v5
	v_add_f32_e32 v6, v8, v6
	ds_write_b64 v9, v[5:6]
	s_waitcnt lgkmcnt(0)
	ds_read_b64 v[5:6], v9
.LBB70_27:
	s_or_b64 exec, exec, s[0:1]
	s_waitcnt lgkmcnt(0)
	v_mov_b32_e32 v8, v6
	v_mov_b32_e32 v7, v5
.LBB70_28:
	v_cmp_gt_u32_e32 vcc, 9, v0
	s_and_b64 exec, exec, vcc
	s_cbranch_execz .LBB70_33
; %bb.29:
	v_cmp_eq_f32_e32 vcc, 0, v1
	v_cmp_eq_f32_e64 s[0:1], 0, v2
	s_waitcnt lgkmcnt(0)
	v_mul_f32_e64 v5, v8, -v4
	v_mul_f32_e32 v6, v3, v8
	s_and_b64 s[0:1], vcc, s[0:1]
	v_fmac_f32_e32 v5, v3, v7
	v_fmac_f32_e32 v6, v4, v7
	s_and_saveexec_b64 s[2:3], s[0:1]
	s_xor_b64 s[0:1], exec, s[2:3]
	s_cbranch_execz .LBB70_31
; %bb.30:
	v_mad_u64_u32 v[0:1], s[2:3], s6, 9, v[0:1]
	v_mov_b32_e32 v1, 0
	v_mov_b32_e32 v2, s9
	v_lshlrev_b64 v[0:1], 3, v[0:1]
	v_add_co_u32_e32 v0, vcc, s8, v0
	v_addc_co_u32_e32 v1, vcc, v2, v1, vcc
	global_store_dwordx2 v[0:1], v[5:6], off
                                        ; implicit-def: $vgpr0
                                        ; implicit-def: $vgpr1_vgpr2
                                        ; implicit-def: $vgpr5
.LBB70_31:
	s_andn2_saveexec_b64 s[0:1], s[0:1]
	s_cbranch_execz .LBB70_33
; %bb.32:
	v_mad_u64_u32 v[3:4], s[0:1], s6, 9, v[0:1]
	v_mov_b32_e32 v4, 0
	v_mov_b32_e32 v0, s9
	v_lshlrev_b64 v[3:4], 3, v[3:4]
	v_add_co_u32_e32 v3, vcc, s8, v3
	v_addc_co_u32_e32 v4, vcc, v0, v4, vcc
	global_load_dwordx2 v[7:8], v[3:4], off
	s_waitcnt vmcnt(0)
	v_fmac_f32_e32 v5, v1, v7
	v_fmac_f32_e32 v6, v2, v7
	v_fma_f32 v5, -v2, v8, v5
	v_fmac_f32_e32 v6, v1, v8
	global_store_dwordx2 v[3:4], v[5:6], off
.LBB70_33:
	s_endpgm
	.section	.rodata,"a",@progbits
	.p2align	6, 0x0
	.amdhsa_kernel _ZN9rocsparseL22gebsrmvn_mxn_16_kernelILj54ELj9ELj3E21rocsparse_complex_numIfEEEvi20rocsparse_direction_NS_24const_host_device_scalarIT2_EEPKiS8_PKS5_iiSA_S6_PS5_21rocsparse_index_base_b
		.amdhsa_group_segment_fixed_size 432
		.amdhsa_private_segment_fixed_size 0
		.amdhsa_kernarg_size 80
		.amdhsa_user_sgpr_count 6
		.amdhsa_user_sgpr_private_segment_buffer 1
		.amdhsa_user_sgpr_dispatch_ptr 0
		.amdhsa_user_sgpr_queue_ptr 0
		.amdhsa_user_sgpr_kernarg_segment_ptr 1
		.amdhsa_user_sgpr_dispatch_id 0
		.amdhsa_user_sgpr_flat_scratch_init 0
		.amdhsa_user_sgpr_private_segment_size 0
		.amdhsa_uses_dynamic_stack 0
		.amdhsa_system_sgpr_private_segment_wavefront_offset 0
		.amdhsa_system_sgpr_workgroup_id_x 1
		.amdhsa_system_sgpr_workgroup_id_y 0
		.amdhsa_system_sgpr_workgroup_id_z 0
		.amdhsa_system_sgpr_workgroup_info 0
		.amdhsa_system_vgpr_workitem_id 0
		.amdhsa_next_free_vgpr 18
		.amdhsa_next_free_sgpr 18
		.amdhsa_reserve_vcc 1
		.amdhsa_reserve_flat_scratch 0
		.amdhsa_float_round_mode_32 0
		.amdhsa_float_round_mode_16_64 0
		.amdhsa_float_denorm_mode_32 3
		.amdhsa_float_denorm_mode_16_64 3
		.amdhsa_dx10_clamp 1
		.amdhsa_ieee_mode 1
		.amdhsa_fp16_overflow 0
		.amdhsa_exception_fp_ieee_invalid_op 0
		.amdhsa_exception_fp_denorm_src 0
		.amdhsa_exception_fp_ieee_div_zero 0
		.amdhsa_exception_fp_ieee_overflow 0
		.amdhsa_exception_fp_ieee_underflow 0
		.amdhsa_exception_fp_ieee_inexact 0
		.amdhsa_exception_int_div_zero 0
	.end_amdhsa_kernel
	.section	.text._ZN9rocsparseL22gebsrmvn_mxn_16_kernelILj54ELj9ELj3E21rocsparse_complex_numIfEEEvi20rocsparse_direction_NS_24const_host_device_scalarIT2_EEPKiS8_PKS5_iiSA_S6_PS5_21rocsparse_index_base_b,"axG",@progbits,_ZN9rocsparseL22gebsrmvn_mxn_16_kernelILj54ELj9ELj3E21rocsparse_complex_numIfEEEvi20rocsparse_direction_NS_24const_host_device_scalarIT2_EEPKiS8_PKS5_iiSA_S6_PS5_21rocsparse_index_base_b,comdat
.Lfunc_end70:
	.size	_ZN9rocsparseL22gebsrmvn_mxn_16_kernelILj54ELj9ELj3E21rocsparse_complex_numIfEEEvi20rocsparse_direction_NS_24const_host_device_scalarIT2_EEPKiS8_PKS5_iiSA_S6_PS5_21rocsparse_index_base_b, .Lfunc_end70-_ZN9rocsparseL22gebsrmvn_mxn_16_kernelILj54ELj9ELj3E21rocsparse_complex_numIfEEEvi20rocsparse_direction_NS_24const_host_device_scalarIT2_EEPKiS8_PKS5_iiSA_S6_PS5_21rocsparse_index_base_b
                                        ; -- End function
	.set _ZN9rocsparseL22gebsrmvn_mxn_16_kernelILj54ELj9ELj3E21rocsparse_complex_numIfEEEvi20rocsparse_direction_NS_24const_host_device_scalarIT2_EEPKiS8_PKS5_iiSA_S6_PS5_21rocsparse_index_base_b.num_vgpr, 18
	.set _ZN9rocsparseL22gebsrmvn_mxn_16_kernelILj54ELj9ELj3E21rocsparse_complex_numIfEEEvi20rocsparse_direction_NS_24const_host_device_scalarIT2_EEPKiS8_PKS5_iiSA_S6_PS5_21rocsparse_index_base_b.num_agpr, 0
	.set _ZN9rocsparseL22gebsrmvn_mxn_16_kernelILj54ELj9ELj3E21rocsparse_complex_numIfEEEvi20rocsparse_direction_NS_24const_host_device_scalarIT2_EEPKiS8_PKS5_iiSA_S6_PS5_21rocsparse_index_base_b.numbered_sgpr, 18
	.set _ZN9rocsparseL22gebsrmvn_mxn_16_kernelILj54ELj9ELj3E21rocsparse_complex_numIfEEEvi20rocsparse_direction_NS_24const_host_device_scalarIT2_EEPKiS8_PKS5_iiSA_S6_PS5_21rocsparse_index_base_b.num_named_barrier, 0
	.set _ZN9rocsparseL22gebsrmvn_mxn_16_kernelILj54ELj9ELj3E21rocsparse_complex_numIfEEEvi20rocsparse_direction_NS_24const_host_device_scalarIT2_EEPKiS8_PKS5_iiSA_S6_PS5_21rocsparse_index_base_b.private_seg_size, 0
	.set _ZN9rocsparseL22gebsrmvn_mxn_16_kernelILj54ELj9ELj3E21rocsparse_complex_numIfEEEvi20rocsparse_direction_NS_24const_host_device_scalarIT2_EEPKiS8_PKS5_iiSA_S6_PS5_21rocsparse_index_base_b.uses_vcc, 1
	.set _ZN9rocsparseL22gebsrmvn_mxn_16_kernelILj54ELj9ELj3E21rocsparse_complex_numIfEEEvi20rocsparse_direction_NS_24const_host_device_scalarIT2_EEPKiS8_PKS5_iiSA_S6_PS5_21rocsparse_index_base_b.uses_flat_scratch, 0
	.set _ZN9rocsparseL22gebsrmvn_mxn_16_kernelILj54ELj9ELj3E21rocsparse_complex_numIfEEEvi20rocsparse_direction_NS_24const_host_device_scalarIT2_EEPKiS8_PKS5_iiSA_S6_PS5_21rocsparse_index_base_b.has_dyn_sized_stack, 0
	.set _ZN9rocsparseL22gebsrmvn_mxn_16_kernelILj54ELj9ELj3E21rocsparse_complex_numIfEEEvi20rocsparse_direction_NS_24const_host_device_scalarIT2_EEPKiS8_PKS5_iiSA_S6_PS5_21rocsparse_index_base_b.has_recursion, 0
	.set _ZN9rocsparseL22gebsrmvn_mxn_16_kernelILj54ELj9ELj3E21rocsparse_complex_numIfEEEvi20rocsparse_direction_NS_24const_host_device_scalarIT2_EEPKiS8_PKS5_iiSA_S6_PS5_21rocsparse_index_base_b.has_indirect_call, 0
	.section	.AMDGPU.csdata,"",@progbits
; Kernel info:
; codeLenInByte = 1100
; TotalNumSgprs: 22
; NumVgprs: 18
; ScratchSize: 0
; MemoryBound: 0
; FloatMode: 240
; IeeeMode: 1
; LDSByteSize: 432 bytes/workgroup (compile time only)
; SGPRBlocks: 2
; VGPRBlocks: 4
; NumSGPRsForWavesPerEU: 22
; NumVGPRsForWavesPerEU: 18
; Occupancy: 10
; WaveLimiterHint : 1
; COMPUTE_PGM_RSRC2:SCRATCH_EN: 0
; COMPUTE_PGM_RSRC2:USER_SGPR: 6
; COMPUTE_PGM_RSRC2:TRAP_HANDLER: 0
; COMPUTE_PGM_RSRC2:TGID_X_EN: 1
; COMPUTE_PGM_RSRC2:TGID_Y_EN: 0
; COMPUTE_PGM_RSRC2:TGID_Z_EN: 0
; COMPUTE_PGM_RSRC2:TIDIG_COMP_CNT: 0
	.section	.text._ZN9rocsparseL22gebsrmvn_mxn_16_kernelILj36ELj9ELj4E21rocsparse_complex_numIfEEEvi20rocsparse_direction_NS_24const_host_device_scalarIT2_EEPKiS8_PKS5_iiSA_S6_PS5_21rocsparse_index_base_b,"axG",@progbits,_ZN9rocsparseL22gebsrmvn_mxn_16_kernelILj36ELj9ELj4E21rocsparse_complex_numIfEEEvi20rocsparse_direction_NS_24const_host_device_scalarIT2_EEPKiS8_PKS5_iiSA_S6_PS5_21rocsparse_index_base_b,comdat
	.globl	_ZN9rocsparseL22gebsrmvn_mxn_16_kernelILj36ELj9ELj4E21rocsparse_complex_numIfEEEvi20rocsparse_direction_NS_24const_host_device_scalarIT2_EEPKiS8_PKS5_iiSA_S6_PS5_21rocsparse_index_base_b ; -- Begin function _ZN9rocsparseL22gebsrmvn_mxn_16_kernelILj36ELj9ELj4E21rocsparse_complex_numIfEEEvi20rocsparse_direction_NS_24const_host_device_scalarIT2_EEPKiS8_PKS5_iiSA_S6_PS5_21rocsparse_index_base_b
	.p2align	8
	.type	_ZN9rocsparseL22gebsrmvn_mxn_16_kernelILj36ELj9ELj4E21rocsparse_complex_numIfEEEvi20rocsparse_direction_NS_24const_host_device_scalarIT2_EEPKiS8_PKS5_iiSA_S6_PS5_21rocsparse_index_base_b,@function
_ZN9rocsparseL22gebsrmvn_mxn_16_kernelILj36ELj9ELj4E21rocsparse_complex_numIfEEEvi20rocsparse_direction_NS_24const_host_device_scalarIT2_EEPKiS8_PKS5_iiSA_S6_PS5_21rocsparse_index_base_b: ; @_ZN9rocsparseL22gebsrmvn_mxn_16_kernelILj36ELj9ELj4E21rocsparse_complex_numIfEEEvi20rocsparse_direction_NS_24const_host_device_scalarIT2_EEPKiS8_PKS5_iiSA_S6_PS5_21rocsparse_index_base_b
; %bb.0:
	s_load_dwordx2 s[0:1], s[4:5], 0x8
	s_load_dwordx2 s[2:3], s[4:5], 0x38
	;; [unrolled: 1-line block ×3, first 2 shown]
	s_add_u32 s7, s4, 8
	s_addc_u32 s8, s5, 0
	s_add_u32 s9, s4, 56
	s_addc_u32 s12, s5, 0
	s_waitcnt lgkmcnt(0)
	s_bitcmp1_b32 s11, 0
	s_cselect_b32 s1, s8, s1
	s_cselect_b32 s0, s7, s0
	v_mov_b32_e32 v1, s0
	v_mov_b32_e32 v2, s1
	flat_load_dwordx2 v[3:4], v[1:2]
	s_cselect_b32 s0, s12, s3
	s_cselect_b32 s1, s9, s2
	v_mov_b32_e32 v1, s1
	v_mov_b32_e32 v2, s0
	flat_load_dwordx2 v[1:2], v[1:2]
	s_waitcnt vmcnt(0) lgkmcnt(0)
	v_cmp_eq_f32_e32 vcc, 0, v3
	v_cmp_eq_f32_e64 s[0:1], 0, v4
	s_and_b64 s[8:9], vcc, s[0:1]
	s_mov_b64 s[0:1], -1
	s_and_saveexec_b64 s[2:3], s[8:9]
; %bb.1:
	v_cmp_neq_f32_e32 vcc, 1.0, v1
	v_cmp_neq_f32_e64 s[0:1], 0, v2
	s_or_b64 s[0:1], vcc, s[0:1]
	s_orn2_b64 s[0:1], s[0:1], exec
; %bb.2:
	s_or_b64 exec, exec, s[2:3]
	s_and_saveexec_b64 s[2:3], s[0:1]
	s_cbranch_execz .LBB71_31
; %bb.3:
	s_load_dword s2, s[4:5], 0x4
	s_load_dwordx2 s[0:1], s[4:5], 0x10
	v_and_b32_e32 v11, 3, v0
	v_mov_b32_e32 v12, v11
	s_waitcnt lgkmcnt(0)
	s_cmp_lg_u32 s2, 1
	s_cselect_b64 s[12:13], -1, 0
	s_and_b64 vcc, exec, s[12:13]
	s_cbranch_vccnz .LBB71_5
; %bb.4:
	v_mul_u32_u24_e32 v5, 0x1c72, v0
	v_bfe_u32 v12, v5, 16, 2
.LBB71_5:
	s_ashr_i32 s7, s6, 31
	s_lshl_b64 s[2:3], s[6:7], 2
	s_add_u32 s0, s0, s2
	s_addc_u32 s1, s1, s3
	s_load_dwordx2 s[16:17], s[0:1], 0x0
	s_load_dwordx2 s[8:9], s[4:5], 0x40
	v_mov_b32_e32 v6, 0
	v_mov_b32_e32 v5, 0
	s_waitcnt lgkmcnt(0)
	s_cmp_ge_i32 s16, s17
	s_cbranch_scc1 .LBB71_10
; %bb.6:
	s_load_dwordx4 s[0:3], s[4:5], 0x18
	s_load_dwordx2 s[14:15], s[4:5], 0x30
	v_mad_u64_u32 v[5:6], s[4:5], s16, 36, v[0:1]
	s_mul_i32 s4, s10, 36
	v_mov_b32_e32 v8, 0
	s_sub_i32 s7, s17, s10
	s_sub_i32 s11, s16, s10
	v_mul_u32_u24_e32 v13, 0x71d, v0
	v_subrev_u32_e32 v7, s4, v5
	v_mov_b32_e32 v6, v8
	v_mov_b32_e32 v5, v8
	s_branch .LBB71_8
.LBB71_7:                               ;   in Loop: Header=BB71_8 Depth=1
	s_or_b64 exec, exec, s[4:5]
	s_add_i32 s11, s11, 1
	s_cmp_ge_i32 s11, s7
	v_add_u32_e32 v7, 36, v7
	s_cbranch_scc1 .LBB71_10
.LBB71_8:                               ; =>This Inner Loop Header: Depth=1
	v_add_u32_sdwa v9, v13, s11 dst_sel:DWORD dst_unused:UNUSED_PAD src0_sel:WORD_1 src1_sel:DWORD
	v_cmp_gt_i32_e32 vcc, s7, v9
	s_and_saveexec_b64 s[4:5], vcc
	s_cbranch_execz .LBB71_7
; %bb.9:                                ;   in Loop: Header=BB71_8 Depth=1
	v_ashrrev_i32_e32 v10, 31, v9
	v_lshlrev_b64 v[9:10], 2, v[9:10]
	s_waitcnt lgkmcnt(0)
	v_mov_b32_e32 v14, s1
	v_add_co_u32_e32 v9, vcc, s0, v9
	v_addc_co_u32_e32 v10, vcc, v14, v10, vcc
	global_load_dword v14, v[9:10], off
	v_lshlrev_b64 v[9:10], 3, v[7:8]
	v_mov_b32_e32 v15, s3
	v_add_co_u32_e32 v9, vcc, s2, v9
	v_addc_co_u32_e32 v10, vcc, v15, v10, vcc
	v_mov_b32_e32 v16, s15
	global_load_dwordx2 v[9:10], v[9:10], off
	s_waitcnt vmcnt(1)
	v_subrev_u32_e32 v14, s10, v14
	v_lshl_or_b32 v14, v14, 2, v12
	v_ashrrev_i32_e32 v15, 31, v14
	v_lshlrev_b64 v[14:15], 3, v[14:15]
	v_add_co_u32_e32 v14, vcc, s14, v14
	v_addc_co_u32_e32 v15, vcc, v16, v15, vcc
	global_load_dwordx2 v[14:15], v[14:15], off
	s_waitcnt vmcnt(0)
	v_fmac_f32_e32 v5, v9, v14
	v_fmac_f32_e32 v6, v10, v14
	v_fma_f32 v5, -v10, v15, v5
	v_fmac_f32_e32 v6, v9, v15
	s_branch .LBB71_7
.LBB71_10:
	v_lshlrev_b32_e32 v9, 3, v0
	s_and_b64 vcc, exec, s[12:13]
	ds_write_b64 v9, v[5:6]
	s_waitcnt lgkmcnt(0)
	; wave barrier
	s_cbranch_vccz .LBB71_18
; %bb.11:
	v_cmp_gt_u32_e32 vcc, 2, v11
	s_and_saveexec_b64 s[0:1], vcc
	s_cbranch_execz .LBB71_13
; %bb.12:
	ds_read2_b64 v[12:15], v9 offset1:2
	s_waitcnt lgkmcnt(0)
	v_add_f32_e32 v7, v14, v12
	v_add_f32_e32 v8, v15, v13
	ds_write_b64 v9, v[7:8]
.LBB71_13:
	s_or_b64 exec, exec, s[0:1]
	v_cmp_eq_u32_e32 vcc, 0, v11
	s_waitcnt lgkmcnt(0)
	; wave barrier
	s_and_saveexec_b64 s[0:1], vcc
	s_cbranch_execz .LBB71_15
; %bb.14:
	ds_read2_b64 v[10:13], v9 offset1:1
	s_waitcnt lgkmcnt(0)
	v_add_f32_e32 v7, v12, v10
	v_add_f32_e32 v8, v13, v11
	ds_write_b64 v9, v[7:8]
.LBB71_15:
	s_or_b64 exec, exec, s[0:1]
	v_cmp_gt_u32_e32 vcc, 9, v0
	v_mov_b32_e32 v8, v6
	v_mov_b32_e32 v7, v5
	s_waitcnt lgkmcnt(0)
	; wave barrier
	s_and_saveexec_b64 s[0:1], vcc
; %bb.16:
	v_mad_u32_u24 v7, v0, 24, v9
	ds_read_b64 v[7:8], v7
; %bb.17:
	s_or_b64 exec, exec, s[0:1]
	s_branch .LBB71_26
.LBB71_18:
                                        ; implicit-def: $vgpr8
	s_cbranch_execz .LBB71_26
; %bb.19:
	v_cmp_gt_u32_e32 vcc, 18, v0
	s_and_saveexec_b64 s[0:1], vcc
	s_cbranch_execz .LBB71_21
; %bb.20:
	ds_read2_b64 v[10:13], v9 offset1:18
	s_waitcnt lgkmcnt(0)
	v_add_f32_e32 v7, v12, v10
	v_add_f32_e32 v8, v13, v11
	ds_write_b64 v9, v[7:8]
.LBB71_21:
	s_or_b64 exec, exec, s[0:1]
	v_cmp_lt_u32_e32 vcc, 8, v0
	s_waitcnt lgkmcnt(0)
	s_and_saveexec_b64 s[0:1], vcc
	s_xor_b64 s[0:1], exec, s[0:1]
; %bb.22:
                                        ; implicit-def: $vgpr9
; %bb.23:
	s_andn2_saveexec_b64 s[0:1], s[0:1]
	s_cbranch_execz .LBB71_25
; %bb.24:
	ds_read2_b64 v[5:8], v9 offset1:9
	s_waitcnt lgkmcnt(0)
	v_add_f32_e32 v5, v7, v5
	v_add_f32_e32 v6, v8, v6
	ds_write_b64 v9, v[5:6]
	s_waitcnt lgkmcnt(0)
	ds_read_b64 v[5:6], v9
.LBB71_25:
	s_or_b64 exec, exec, s[0:1]
	s_waitcnt lgkmcnt(0)
	v_mov_b32_e32 v8, v6
	v_mov_b32_e32 v7, v5
.LBB71_26:
	v_cmp_gt_u32_e32 vcc, 9, v0
	s_and_b64 exec, exec, vcc
	s_cbranch_execz .LBB71_31
; %bb.27:
	v_cmp_eq_f32_e32 vcc, 0, v1
	v_cmp_eq_f32_e64 s[0:1], 0, v2
	s_waitcnt lgkmcnt(0)
	v_mul_f32_e64 v5, v8, -v4
	v_mul_f32_e32 v6, v3, v8
	s_and_b64 s[0:1], vcc, s[0:1]
	v_fmac_f32_e32 v5, v3, v7
	v_fmac_f32_e32 v6, v4, v7
	s_and_saveexec_b64 s[2:3], s[0:1]
	s_xor_b64 s[0:1], exec, s[2:3]
	s_cbranch_execz .LBB71_29
; %bb.28:
	v_mad_u64_u32 v[0:1], s[2:3], s6, 9, v[0:1]
	v_mov_b32_e32 v1, 0
	v_mov_b32_e32 v2, s9
	v_lshlrev_b64 v[0:1], 3, v[0:1]
	v_add_co_u32_e32 v0, vcc, s8, v0
	v_addc_co_u32_e32 v1, vcc, v2, v1, vcc
	global_store_dwordx2 v[0:1], v[5:6], off
                                        ; implicit-def: $vgpr0
                                        ; implicit-def: $vgpr1_vgpr2
                                        ; implicit-def: $vgpr5
.LBB71_29:
	s_andn2_saveexec_b64 s[0:1], s[0:1]
	s_cbranch_execz .LBB71_31
; %bb.30:
	v_mad_u64_u32 v[3:4], s[0:1], s6, 9, v[0:1]
	v_mov_b32_e32 v4, 0
	v_mov_b32_e32 v0, s9
	v_lshlrev_b64 v[3:4], 3, v[3:4]
	v_add_co_u32_e32 v3, vcc, s8, v3
	v_addc_co_u32_e32 v4, vcc, v0, v4, vcc
	global_load_dwordx2 v[7:8], v[3:4], off
	s_waitcnt vmcnt(0)
	v_fmac_f32_e32 v5, v1, v7
	v_fmac_f32_e32 v6, v2, v7
	v_fma_f32 v5, -v2, v8, v5
	v_fmac_f32_e32 v6, v1, v8
	global_store_dwordx2 v[3:4], v[5:6], off
.LBB71_31:
	s_endpgm
	.section	.rodata,"a",@progbits
	.p2align	6, 0x0
	.amdhsa_kernel _ZN9rocsparseL22gebsrmvn_mxn_16_kernelILj36ELj9ELj4E21rocsparse_complex_numIfEEEvi20rocsparse_direction_NS_24const_host_device_scalarIT2_EEPKiS8_PKS5_iiSA_S6_PS5_21rocsparse_index_base_b
		.amdhsa_group_segment_fixed_size 288
		.amdhsa_private_segment_fixed_size 0
		.amdhsa_kernarg_size 80
		.amdhsa_user_sgpr_count 6
		.amdhsa_user_sgpr_private_segment_buffer 1
		.amdhsa_user_sgpr_dispatch_ptr 0
		.amdhsa_user_sgpr_queue_ptr 0
		.amdhsa_user_sgpr_kernarg_segment_ptr 1
		.amdhsa_user_sgpr_dispatch_id 0
		.amdhsa_user_sgpr_flat_scratch_init 0
		.amdhsa_user_sgpr_private_segment_size 0
		.amdhsa_uses_dynamic_stack 0
		.amdhsa_system_sgpr_private_segment_wavefront_offset 0
		.amdhsa_system_sgpr_workgroup_id_x 1
		.amdhsa_system_sgpr_workgroup_id_y 0
		.amdhsa_system_sgpr_workgroup_id_z 0
		.amdhsa_system_sgpr_workgroup_info 0
		.amdhsa_system_vgpr_workitem_id 0
		.amdhsa_next_free_vgpr 17
		.amdhsa_next_free_sgpr 18
		.amdhsa_reserve_vcc 1
		.amdhsa_reserve_flat_scratch 0
		.amdhsa_float_round_mode_32 0
		.amdhsa_float_round_mode_16_64 0
		.amdhsa_float_denorm_mode_32 3
		.amdhsa_float_denorm_mode_16_64 3
		.amdhsa_dx10_clamp 1
		.amdhsa_ieee_mode 1
		.amdhsa_fp16_overflow 0
		.amdhsa_exception_fp_ieee_invalid_op 0
		.amdhsa_exception_fp_denorm_src 0
		.amdhsa_exception_fp_ieee_div_zero 0
		.amdhsa_exception_fp_ieee_overflow 0
		.amdhsa_exception_fp_ieee_underflow 0
		.amdhsa_exception_fp_ieee_inexact 0
		.amdhsa_exception_int_div_zero 0
	.end_amdhsa_kernel
	.section	.text._ZN9rocsparseL22gebsrmvn_mxn_16_kernelILj36ELj9ELj4E21rocsparse_complex_numIfEEEvi20rocsparse_direction_NS_24const_host_device_scalarIT2_EEPKiS8_PKS5_iiSA_S6_PS5_21rocsparse_index_base_b,"axG",@progbits,_ZN9rocsparseL22gebsrmvn_mxn_16_kernelILj36ELj9ELj4E21rocsparse_complex_numIfEEEvi20rocsparse_direction_NS_24const_host_device_scalarIT2_EEPKiS8_PKS5_iiSA_S6_PS5_21rocsparse_index_base_b,comdat
.Lfunc_end71:
	.size	_ZN9rocsparseL22gebsrmvn_mxn_16_kernelILj36ELj9ELj4E21rocsparse_complex_numIfEEEvi20rocsparse_direction_NS_24const_host_device_scalarIT2_EEPKiS8_PKS5_iiSA_S6_PS5_21rocsparse_index_base_b, .Lfunc_end71-_ZN9rocsparseL22gebsrmvn_mxn_16_kernelILj36ELj9ELj4E21rocsparse_complex_numIfEEEvi20rocsparse_direction_NS_24const_host_device_scalarIT2_EEPKiS8_PKS5_iiSA_S6_PS5_21rocsparse_index_base_b
                                        ; -- End function
	.set _ZN9rocsparseL22gebsrmvn_mxn_16_kernelILj36ELj9ELj4E21rocsparse_complex_numIfEEEvi20rocsparse_direction_NS_24const_host_device_scalarIT2_EEPKiS8_PKS5_iiSA_S6_PS5_21rocsparse_index_base_b.num_vgpr, 17
	.set _ZN9rocsparseL22gebsrmvn_mxn_16_kernelILj36ELj9ELj4E21rocsparse_complex_numIfEEEvi20rocsparse_direction_NS_24const_host_device_scalarIT2_EEPKiS8_PKS5_iiSA_S6_PS5_21rocsparse_index_base_b.num_agpr, 0
	.set _ZN9rocsparseL22gebsrmvn_mxn_16_kernelILj36ELj9ELj4E21rocsparse_complex_numIfEEEvi20rocsparse_direction_NS_24const_host_device_scalarIT2_EEPKiS8_PKS5_iiSA_S6_PS5_21rocsparse_index_base_b.numbered_sgpr, 18
	.set _ZN9rocsparseL22gebsrmvn_mxn_16_kernelILj36ELj9ELj4E21rocsparse_complex_numIfEEEvi20rocsparse_direction_NS_24const_host_device_scalarIT2_EEPKiS8_PKS5_iiSA_S6_PS5_21rocsparse_index_base_b.num_named_barrier, 0
	.set _ZN9rocsparseL22gebsrmvn_mxn_16_kernelILj36ELj9ELj4E21rocsparse_complex_numIfEEEvi20rocsparse_direction_NS_24const_host_device_scalarIT2_EEPKiS8_PKS5_iiSA_S6_PS5_21rocsparse_index_base_b.private_seg_size, 0
	.set _ZN9rocsparseL22gebsrmvn_mxn_16_kernelILj36ELj9ELj4E21rocsparse_complex_numIfEEEvi20rocsparse_direction_NS_24const_host_device_scalarIT2_EEPKiS8_PKS5_iiSA_S6_PS5_21rocsparse_index_base_b.uses_vcc, 1
	.set _ZN9rocsparseL22gebsrmvn_mxn_16_kernelILj36ELj9ELj4E21rocsparse_complex_numIfEEEvi20rocsparse_direction_NS_24const_host_device_scalarIT2_EEPKiS8_PKS5_iiSA_S6_PS5_21rocsparse_index_base_b.uses_flat_scratch, 0
	.set _ZN9rocsparseL22gebsrmvn_mxn_16_kernelILj36ELj9ELj4E21rocsparse_complex_numIfEEEvi20rocsparse_direction_NS_24const_host_device_scalarIT2_EEPKiS8_PKS5_iiSA_S6_PS5_21rocsparse_index_base_b.has_dyn_sized_stack, 0
	.set _ZN9rocsparseL22gebsrmvn_mxn_16_kernelILj36ELj9ELj4E21rocsparse_complex_numIfEEEvi20rocsparse_direction_NS_24const_host_device_scalarIT2_EEPKiS8_PKS5_iiSA_S6_PS5_21rocsparse_index_base_b.has_recursion, 0
	.set _ZN9rocsparseL22gebsrmvn_mxn_16_kernelILj36ELj9ELj4E21rocsparse_complex_numIfEEEvi20rocsparse_direction_NS_24const_host_device_scalarIT2_EEPKiS8_PKS5_iiSA_S6_PS5_21rocsparse_index_base_b.has_indirect_call, 0
	.section	.AMDGPU.csdata,"",@progbits
; Kernel info:
; codeLenInByte = 988
; TotalNumSgprs: 22
; NumVgprs: 17
; ScratchSize: 0
; MemoryBound: 0
; FloatMode: 240
; IeeeMode: 1
; LDSByteSize: 288 bytes/workgroup (compile time only)
; SGPRBlocks: 2
; VGPRBlocks: 4
; NumSGPRsForWavesPerEU: 22
; NumVGPRsForWavesPerEU: 17
; Occupancy: 10
; WaveLimiterHint : 1
; COMPUTE_PGM_RSRC2:SCRATCH_EN: 0
; COMPUTE_PGM_RSRC2:USER_SGPR: 6
; COMPUTE_PGM_RSRC2:TRAP_HANDLER: 0
; COMPUTE_PGM_RSRC2:TGID_X_EN: 1
; COMPUTE_PGM_RSRC2:TGID_Y_EN: 0
; COMPUTE_PGM_RSRC2:TGID_Z_EN: 0
; COMPUTE_PGM_RSRC2:TIDIG_COMP_CNT: 0
	.section	.text._ZN9rocsparseL22gebsrmvn_mxn_16_kernelILj45ELj9ELj5E21rocsparse_complex_numIfEEEvi20rocsparse_direction_NS_24const_host_device_scalarIT2_EEPKiS8_PKS5_iiSA_S6_PS5_21rocsparse_index_base_b,"axG",@progbits,_ZN9rocsparseL22gebsrmvn_mxn_16_kernelILj45ELj9ELj5E21rocsparse_complex_numIfEEEvi20rocsparse_direction_NS_24const_host_device_scalarIT2_EEPKiS8_PKS5_iiSA_S6_PS5_21rocsparse_index_base_b,comdat
	.globl	_ZN9rocsparseL22gebsrmvn_mxn_16_kernelILj45ELj9ELj5E21rocsparse_complex_numIfEEEvi20rocsparse_direction_NS_24const_host_device_scalarIT2_EEPKiS8_PKS5_iiSA_S6_PS5_21rocsparse_index_base_b ; -- Begin function _ZN9rocsparseL22gebsrmvn_mxn_16_kernelILj45ELj9ELj5E21rocsparse_complex_numIfEEEvi20rocsparse_direction_NS_24const_host_device_scalarIT2_EEPKiS8_PKS5_iiSA_S6_PS5_21rocsparse_index_base_b
	.p2align	8
	.type	_ZN9rocsparseL22gebsrmvn_mxn_16_kernelILj45ELj9ELj5E21rocsparse_complex_numIfEEEvi20rocsparse_direction_NS_24const_host_device_scalarIT2_EEPKiS8_PKS5_iiSA_S6_PS5_21rocsparse_index_base_b,@function
_ZN9rocsparseL22gebsrmvn_mxn_16_kernelILj45ELj9ELj5E21rocsparse_complex_numIfEEEvi20rocsparse_direction_NS_24const_host_device_scalarIT2_EEPKiS8_PKS5_iiSA_S6_PS5_21rocsparse_index_base_b: ; @_ZN9rocsparseL22gebsrmvn_mxn_16_kernelILj45ELj9ELj5E21rocsparse_complex_numIfEEEvi20rocsparse_direction_NS_24const_host_device_scalarIT2_EEPKiS8_PKS5_iiSA_S6_PS5_21rocsparse_index_base_b
; %bb.0:
	s_load_dwordx2 s[0:1], s[4:5], 0x8
	s_load_dwordx2 s[2:3], s[4:5], 0x38
	;; [unrolled: 1-line block ×3, first 2 shown]
	s_add_u32 s7, s4, 8
	s_addc_u32 s8, s5, 0
	s_add_u32 s9, s4, 56
	s_addc_u32 s12, s5, 0
	s_waitcnt lgkmcnt(0)
	s_bitcmp1_b32 s11, 0
	s_cselect_b32 s1, s8, s1
	s_cselect_b32 s0, s7, s0
	v_mov_b32_e32 v1, s0
	v_mov_b32_e32 v2, s1
	flat_load_dwordx2 v[3:4], v[1:2]
	s_cselect_b32 s0, s12, s3
	s_cselect_b32 s1, s9, s2
	v_mov_b32_e32 v1, s1
	v_mov_b32_e32 v2, s0
	flat_load_dwordx2 v[1:2], v[1:2]
	s_waitcnt vmcnt(0) lgkmcnt(0)
	v_cmp_eq_f32_e32 vcc, 0, v3
	v_cmp_eq_f32_e64 s[0:1], 0, v4
	s_and_b64 s[8:9], vcc, s[0:1]
	s_mov_b64 s[0:1], -1
	s_and_saveexec_b64 s[2:3], s[8:9]
; %bb.1:
	v_cmp_neq_f32_e32 vcc, 1.0, v1
	v_cmp_neq_f32_e64 s[0:1], 0, v2
	s_or_b64 s[0:1], vcc, s[0:1]
	s_orn2_b64 s[0:1], s[0:1], exec
; %bb.2:
	s_or_b64 exec, exec, s[2:3]
	s_and_saveexec_b64 s[2:3], s[0:1]
	s_cbranch_execz .LBB72_35
; %bb.3:
	s_load_dwordx2 s[0:1], s[4:5], 0x10
	s_load_dword s2, s[4:5], 0x4
	v_mul_u32_u24_e32 v6, 0x3334, v0
	v_mov_b32_e32 v5, 5
	v_mul_lo_u16_sdwa v6, v6, v5 dst_sel:DWORD dst_unused:UNUSED_PAD src0_sel:WORD_1 src1_sel:DWORD
	v_sub_u16_e32 v12, v0, v6
	s_waitcnt lgkmcnt(0)
	s_cmp_lg_u32 s2, 1
	s_cselect_b64 s[12:13], -1, 0
	s_and_b64 vcc, exec, s[12:13]
	v_mov_b32_e32 v7, v12
	s_cbranch_vccnz .LBB72_5
; %bb.4:
	s_movk_i32 s2, 0x1c72
	v_mul_u32_u24_sdwa v6, v0, s2 dst_sel:DWORD dst_unused:UNUSED_PAD src0_sel:WORD_0 src1_sel:DWORD
	v_mov_b32_e32 v7, 52
	v_mul_lo_u16_sdwa v7, v6, v7 dst_sel:DWORD dst_unused:UNUSED_PAD src0_sel:WORD_1 src1_sel:DWORD
	v_mul_lo_u16_sdwa v5, v7, v5 dst_sel:DWORD dst_unused:UNUSED_PAD src0_sel:BYTE_1 src1_sel:DWORD
	v_sub_u16_sdwa v5, v6, v5 dst_sel:DWORD dst_unused:UNUSED_PAD src0_sel:WORD_1 src1_sel:DWORD
	v_and_b32_e32 v7, 0xff, v5
.LBB72_5:
	s_ashr_i32 s7, s6, 31
	s_lshl_b64 s[2:3], s[6:7], 2
	s_add_u32 s0, s0, s2
	s_addc_u32 s1, s1, s3
	s_load_dwordx2 s[16:17], s[0:1], 0x0
	s_load_dwordx2 s[8:9], s[4:5], 0x40
	v_mov_b32_e32 v6, 0
	v_mov_b32_e32 v5, 0
	s_waitcnt lgkmcnt(0)
	s_cmp_ge_i32 s16, s17
	s_cbranch_scc1 .LBB72_10
; %bb.6:
	s_load_dwordx4 s[0:3], s[4:5], 0x18
	s_load_dwordx2 s[14:15], s[4:5], 0x30
	v_mad_u64_u32 v[5:6], s[4:5], s16, 45, v[0:1]
	s_movk_i32 s4, 0x5b1
	v_mul_u32_u24_sdwa v13, v0, s4 dst_sel:DWORD dst_unused:UNUSED_PAD src0_sel:WORD_0 src1_sel:DWORD
	s_mul_i32 s4, s10, 45
	v_mov_b32_e32 v9, 0
	s_sub_i32 s7, s17, s10
	s_sub_i32 s11, s16, s10
	v_subrev_u32_e32 v8, s4, v5
	v_mov_b32_e32 v6, v9
	v_mov_b32_e32 v5, v9
	s_branch .LBB72_8
.LBB72_7:                               ;   in Loop: Header=BB72_8 Depth=1
	s_or_b64 exec, exec, s[4:5]
	s_add_i32 s11, s11, 1
	s_cmp_ge_i32 s11, s7
	v_add_u32_e32 v8, 45, v8
	s_cbranch_scc1 .LBB72_10
.LBB72_8:                               ; =>This Inner Loop Header: Depth=1
	v_add_u32_sdwa v10, v13, s11 dst_sel:DWORD dst_unused:UNUSED_PAD src0_sel:WORD_1 src1_sel:DWORD
	v_cmp_gt_i32_e32 vcc, s7, v10
	s_and_saveexec_b64 s[4:5], vcc
	s_cbranch_execz .LBB72_7
; %bb.9:                                ;   in Loop: Header=BB72_8 Depth=1
	v_ashrrev_i32_e32 v11, 31, v10
	v_lshlrev_b64 v[10:11], 2, v[10:11]
	s_waitcnt lgkmcnt(0)
	v_mov_b32_e32 v14, s1
	v_add_co_u32_e32 v10, vcc, s0, v10
	v_addc_co_u32_e32 v11, vcc, v14, v11, vcc
	global_load_dword v14, v[10:11], off
	v_lshlrev_b64 v[10:11], 3, v[8:9]
	v_mov_b32_e32 v16, s3
	v_add_co_u32_e32 v10, vcc, s2, v10
	v_addc_co_u32_e32 v11, vcc, v16, v11, vcc
	v_mov_b32_e32 v17, s15
	global_load_dwordx2 v[10:11], v[10:11], off
	s_waitcnt vmcnt(1)
	v_subrev_u32_e32 v14, s10, v14
	v_mad_u64_u32 v[14:15], s[16:17], v14, 5, v[7:8]
	v_ashrrev_i32_e32 v15, 31, v14
	v_lshlrev_b64 v[14:15], 3, v[14:15]
	v_add_co_u32_e32 v14, vcc, s14, v14
	v_addc_co_u32_e32 v15, vcc, v17, v15, vcc
	global_load_dwordx2 v[14:15], v[14:15], off
	s_waitcnt vmcnt(0)
	v_fmac_f32_e32 v5, v10, v14
	v_fmac_f32_e32 v6, v11, v14
	v_fma_f32 v5, -v11, v15, v5
	v_fmac_f32_e32 v6, v10, v15
	s_branch .LBB72_7
.LBB72_10:
	v_lshlrev_b32_e32 v9, 3, v0
	s_and_b64 vcc, exec, s[12:13]
	ds_write_b64 v9, v[5:6]
	s_waitcnt lgkmcnt(0)
	; wave barrier
	s_cbranch_vccz .LBB72_20
; %bb.11:
	v_cmp_eq_u16_e32 vcc, 0, v12
	s_and_saveexec_b64 s[0:1], vcc
	s_cbranch_execz .LBB72_13
; %bb.12:
	ds_read2_b64 v[13:16], v9 offset1:4
	s_waitcnt lgkmcnt(0)
	v_add_f32_e32 v7, v15, v13
	v_add_f32_e32 v8, v16, v14
	ds_write_b64 v9, v[7:8]
.LBB72_13:
	s_or_b64 exec, exec, s[0:1]
	v_cmp_gt_u16_e64 s[0:1], 2, v12
	s_waitcnt lgkmcnt(0)
	; wave barrier
	s_and_saveexec_b64 s[2:3], s[0:1]
	s_cbranch_execz .LBB72_15
; %bb.14:
	ds_read2_b64 v[10:13], v9 offset1:2
	s_waitcnt lgkmcnt(0)
	v_add_f32_e32 v7, v12, v10
	v_add_f32_e32 v8, v13, v11
	ds_write_b64 v9, v[7:8]
.LBB72_15:
	s_or_b64 exec, exec, s[2:3]
	s_waitcnt lgkmcnt(0)
	; wave barrier
	s_and_saveexec_b64 s[0:1], vcc
	s_cbranch_execz .LBB72_17
; %bb.16:
	ds_read2_b64 v[10:13], v9 offset1:1
	s_waitcnt lgkmcnt(0)
	v_add_f32_e32 v7, v12, v10
	v_add_f32_e32 v8, v13, v11
	ds_write_b64 v9, v[7:8]
.LBB72_17:
	s_or_b64 exec, exec, s[0:1]
	v_cmp_gt_u32_e32 vcc, 9, v0
	v_mov_b32_e32 v8, v6
	v_mov_b32_e32 v7, v5
	s_waitcnt lgkmcnt(0)
	; wave barrier
	s_and_saveexec_b64 s[0:1], vcc
; %bb.18:
	v_lshl_add_u32 v7, v0, 5, v9
	ds_read_b64 v[7:8], v7
; %bb.19:
	s_or_b64 exec, exec, s[0:1]
	v_cmp_gt_u32_e64 s[0:1], 9, v0
	s_branch .LBB72_30
.LBB72_20:
                                        ; implicit-def: $vgpr8
	v_cmp_gt_u32_e64 s[0:1], 9, v0
	s_cbranch_execz .LBB72_30
; %bb.21:
	v_cmp_lt_u32_e32 vcc, 8, v0
	s_and_saveexec_b64 s[2:3], s[0:1]
	s_cbranch_execz .LBB72_23
; %bb.22:
	ds_read2_b64 v[10:13], v9 offset1:36
	s_waitcnt lgkmcnt(0)
	v_add_f32_e32 v7, v12, v10
	v_add_f32_e32 v8, v13, v11
	ds_write_b64 v9, v[7:8]
.LBB72_23:
	s_or_b64 exec, exec, s[2:3]
	v_cmp_gt_u32_e64 s[0:1], 18, v0
	s_waitcnt lgkmcnt(0)
	; wave barrier
	s_and_saveexec_b64 s[2:3], s[0:1]
	s_cbranch_execz .LBB72_25
; %bb.24:
	ds_read2_b64 v[10:13], v9 offset1:18
	s_waitcnt lgkmcnt(0)
	v_add_f32_e32 v7, v12, v10
	v_add_f32_e32 v8, v13, v11
	ds_write_b64 v9, v[7:8]
.LBB72_25:
	s_or_b64 exec, exec, s[2:3]
	s_waitcnt lgkmcnt(0)
	s_and_saveexec_b64 s[0:1], vcc
	s_xor_b64 s[0:1], exec, s[0:1]
; %bb.26:
                                        ; implicit-def: $vgpr9
; %bb.27:
	s_andn2_saveexec_b64 s[0:1], s[0:1]
	s_cbranch_execz .LBB72_29
; %bb.28:
	ds_read2_b64 v[5:8], v9 offset1:9
	s_waitcnt lgkmcnt(0)
	v_add_f32_e32 v5, v7, v5
	v_add_f32_e32 v6, v8, v6
	ds_write_b64 v9, v[5:6]
	s_waitcnt lgkmcnt(0)
	ds_read_b64 v[5:6], v9
.LBB72_29:
	s_or_b64 exec, exec, s[0:1]
	s_waitcnt lgkmcnt(0)
	v_mov_b32_e32 v8, v6
	v_mov_b32_e32 v7, v5
.LBB72_30:
	v_cmp_gt_u32_e32 vcc, 9, v0
	s_and_b64 exec, exec, vcc
	s_cbranch_execz .LBB72_35
; %bb.31:
	v_cmp_eq_f32_e32 vcc, 0, v1
	v_cmp_eq_f32_e64 s[0:1], 0, v2
	s_waitcnt lgkmcnt(0)
	v_mul_f32_e64 v5, v8, -v4
	v_mul_f32_e32 v6, v3, v8
	s_and_b64 s[0:1], vcc, s[0:1]
	v_fmac_f32_e32 v5, v3, v7
	v_fmac_f32_e32 v6, v4, v7
	s_and_saveexec_b64 s[2:3], s[0:1]
	s_xor_b64 s[0:1], exec, s[2:3]
	s_cbranch_execz .LBB72_33
; %bb.32:
	v_mad_u64_u32 v[0:1], s[2:3], s6, 9, v[0:1]
	v_mov_b32_e32 v1, 0
	v_mov_b32_e32 v2, s9
	v_lshlrev_b64 v[0:1], 3, v[0:1]
	v_add_co_u32_e32 v0, vcc, s8, v0
	v_addc_co_u32_e32 v1, vcc, v2, v1, vcc
	global_store_dwordx2 v[0:1], v[5:6], off
                                        ; implicit-def: $vgpr0
                                        ; implicit-def: $vgpr1_vgpr2
                                        ; implicit-def: $vgpr5
.LBB72_33:
	s_andn2_saveexec_b64 s[0:1], s[0:1]
	s_cbranch_execz .LBB72_35
; %bb.34:
	v_mad_u64_u32 v[3:4], s[0:1], s6, 9, v[0:1]
	v_mov_b32_e32 v4, 0
	v_mov_b32_e32 v0, s9
	v_lshlrev_b64 v[3:4], 3, v[3:4]
	v_add_co_u32_e32 v3, vcc, s8, v3
	v_addc_co_u32_e32 v4, vcc, v0, v4, vcc
	global_load_dwordx2 v[7:8], v[3:4], off
	s_waitcnt vmcnt(0)
	v_fmac_f32_e32 v5, v1, v7
	v_fmac_f32_e32 v6, v2, v7
	v_fma_f32 v5, -v2, v8, v5
	v_fmac_f32_e32 v6, v1, v8
	global_store_dwordx2 v[3:4], v[5:6], off
.LBB72_35:
	s_endpgm
	.section	.rodata,"a",@progbits
	.p2align	6, 0x0
	.amdhsa_kernel _ZN9rocsparseL22gebsrmvn_mxn_16_kernelILj45ELj9ELj5E21rocsparse_complex_numIfEEEvi20rocsparse_direction_NS_24const_host_device_scalarIT2_EEPKiS8_PKS5_iiSA_S6_PS5_21rocsparse_index_base_b
		.amdhsa_group_segment_fixed_size 360
		.amdhsa_private_segment_fixed_size 0
		.amdhsa_kernarg_size 80
		.amdhsa_user_sgpr_count 6
		.amdhsa_user_sgpr_private_segment_buffer 1
		.amdhsa_user_sgpr_dispatch_ptr 0
		.amdhsa_user_sgpr_queue_ptr 0
		.amdhsa_user_sgpr_kernarg_segment_ptr 1
		.amdhsa_user_sgpr_dispatch_id 0
		.amdhsa_user_sgpr_flat_scratch_init 0
		.amdhsa_user_sgpr_private_segment_size 0
		.amdhsa_uses_dynamic_stack 0
		.amdhsa_system_sgpr_private_segment_wavefront_offset 0
		.amdhsa_system_sgpr_workgroup_id_x 1
		.amdhsa_system_sgpr_workgroup_id_y 0
		.amdhsa_system_sgpr_workgroup_id_z 0
		.amdhsa_system_sgpr_workgroup_info 0
		.amdhsa_system_vgpr_workitem_id 0
		.amdhsa_next_free_vgpr 18
		.amdhsa_next_free_sgpr 18
		.amdhsa_reserve_vcc 1
		.amdhsa_reserve_flat_scratch 0
		.amdhsa_float_round_mode_32 0
		.amdhsa_float_round_mode_16_64 0
		.amdhsa_float_denorm_mode_32 3
		.amdhsa_float_denorm_mode_16_64 3
		.amdhsa_dx10_clamp 1
		.amdhsa_ieee_mode 1
		.amdhsa_fp16_overflow 0
		.amdhsa_exception_fp_ieee_invalid_op 0
		.amdhsa_exception_fp_denorm_src 0
		.amdhsa_exception_fp_ieee_div_zero 0
		.amdhsa_exception_fp_ieee_overflow 0
		.amdhsa_exception_fp_ieee_underflow 0
		.amdhsa_exception_fp_ieee_inexact 0
		.amdhsa_exception_int_div_zero 0
	.end_amdhsa_kernel
	.section	.text._ZN9rocsparseL22gebsrmvn_mxn_16_kernelILj45ELj9ELj5E21rocsparse_complex_numIfEEEvi20rocsparse_direction_NS_24const_host_device_scalarIT2_EEPKiS8_PKS5_iiSA_S6_PS5_21rocsparse_index_base_b,"axG",@progbits,_ZN9rocsparseL22gebsrmvn_mxn_16_kernelILj45ELj9ELj5E21rocsparse_complex_numIfEEEvi20rocsparse_direction_NS_24const_host_device_scalarIT2_EEPKiS8_PKS5_iiSA_S6_PS5_21rocsparse_index_base_b,comdat
.Lfunc_end72:
	.size	_ZN9rocsparseL22gebsrmvn_mxn_16_kernelILj45ELj9ELj5E21rocsparse_complex_numIfEEEvi20rocsparse_direction_NS_24const_host_device_scalarIT2_EEPKiS8_PKS5_iiSA_S6_PS5_21rocsparse_index_base_b, .Lfunc_end72-_ZN9rocsparseL22gebsrmvn_mxn_16_kernelILj45ELj9ELj5E21rocsparse_complex_numIfEEEvi20rocsparse_direction_NS_24const_host_device_scalarIT2_EEPKiS8_PKS5_iiSA_S6_PS5_21rocsparse_index_base_b
                                        ; -- End function
	.set _ZN9rocsparseL22gebsrmvn_mxn_16_kernelILj45ELj9ELj5E21rocsparse_complex_numIfEEEvi20rocsparse_direction_NS_24const_host_device_scalarIT2_EEPKiS8_PKS5_iiSA_S6_PS5_21rocsparse_index_base_b.num_vgpr, 18
	.set _ZN9rocsparseL22gebsrmvn_mxn_16_kernelILj45ELj9ELj5E21rocsparse_complex_numIfEEEvi20rocsparse_direction_NS_24const_host_device_scalarIT2_EEPKiS8_PKS5_iiSA_S6_PS5_21rocsparse_index_base_b.num_agpr, 0
	.set _ZN9rocsparseL22gebsrmvn_mxn_16_kernelILj45ELj9ELj5E21rocsparse_complex_numIfEEEvi20rocsparse_direction_NS_24const_host_device_scalarIT2_EEPKiS8_PKS5_iiSA_S6_PS5_21rocsparse_index_base_b.numbered_sgpr, 18
	.set _ZN9rocsparseL22gebsrmvn_mxn_16_kernelILj45ELj9ELj5E21rocsparse_complex_numIfEEEvi20rocsparse_direction_NS_24const_host_device_scalarIT2_EEPKiS8_PKS5_iiSA_S6_PS5_21rocsparse_index_base_b.num_named_barrier, 0
	.set _ZN9rocsparseL22gebsrmvn_mxn_16_kernelILj45ELj9ELj5E21rocsparse_complex_numIfEEEvi20rocsparse_direction_NS_24const_host_device_scalarIT2_EEPKiS8_PKS5_iiSA_S6_PS5_21rocsparse_index_base_b.private_seg_size, 0
	.set _ZN9rocsparseL22gebsrmvn_mxn_16_kernelILj45ELj9ELj5E21rocsparse_complex_numIfEEEvi20rocsparse_direction_NS_24const_host_device_scalarIT2_EEPKiS8_PKS5_iiSA_S6_PS5_21rocsparse_index_base_b.uses_vcc, 1
	.set _ZN9rocsparseL22gebsrmvn_mxn_16_kernelILj45ELj9ELj5E21rocsparse_complex_numIfEEEvi20rocsparse_direction_NS_24const_host_device_scalarIT2_EEPKiS8_PKS5_iiSA_S6_PS5_21rocsparse_index_base_b.uses_flat_scratch, 0
	.set _ZN9rocsparseL22gebsrmvn_mxn_16_kernelILj45ELj9ELj5E21rocsparse_complex_numIfEEEvi20rocsparse_direction_NS_24const_host_device_scalarIT2_EEPKiS8_PKS5_iiSA_S6_PS5_21rocsparse_index_base_b.has_dyn_sized_stack, 0
	.set _ZN9rocsparseL22gebsrmvn_mxn_16_kernelILj45ELj9ELj5E21rocsparse_complex_numIfEEEvi20rocsparse_direction_NS_24const_host_device_scalarIT2_EEPKiS8_PKS5_iiSA_S6_PS5_21rocsparse_index_base_b.has_recursion, 0
	.set _ZN9rocsparseL22gebsrmvn_mxn_16_kernelILj45ELj9ELj5E21rocsparse_complex_numIfEEEvi20rocsparse_direction_NS_24const_host_device_scalarIT2_EEPKiS8_PKS5_iiSA_S6_PS5_21rocsparse_index_base_b.has_indirect_call, 0
	.section	.AMDGPU.csdata,"",@progbits
; Kernel info:
; codeLenInByte = 1156
; TotalNumSgprs: 22
; NumVgprs: 18
; ScratchSize: 0
; MemoryBound: 0
; FloatMode: 240
; IeeeMode: 1
; LDSByteSize: 360 bytes/workgroup (compile time only)
; SGPRBlocks: 2
; VGPRBlocks: 4
; NumSGPRsForWavesPerEU: 22
; NumVGPRsForWavesPerEU: 18
; Occupancy: 10
; WaveLimiterHint : 1
; COMPUTE_PGM_RSRC2:SCRATCH_EN: 0
; COMPUTE_PGM_RSRC2:USER_SGPR: 6
; COMPUTE_PGM_RSRC2:TRAP_HANDLER: 0
; COMPUTE_PGM_RSRC2:TGID_X_EN: 1
; COMPUTE_PGM_RSRC2:TGID_Y_EN: 0
; COMPUTE_PGM_RSRC2:TGID_Z_EN: 0
; COMPUTE_PGM_RSRC2:TIDIG_COMP_CNT: 0
	.section	.text._ZN9rocsparseL22gebsrmvn_mxn_16_kernelILj54ELj9ELj6E21rocsparse_complex_numIfEEEvi20rocsparse_direction_NS_24const_host_device_scalarIT2_EEPKiS8_PKS5_iiSA_S6_PS5_21rocsparse_index_base_b,"axG",@progbits,_ZN9rocsparseL22gebsrmvn_mxn_16_kernelILj54ELj9ELj6E21rocsparse_complex_numIfEEEvi20rocsparse_direction_NS_24const_host_device_scalarIT2_EEPKiS8_PKS5_iiSA_S6_PS5_21rocsparse_index_base_b,comdat
	.globl	_ZN9rocsparseL22gebsrmvn_mxn_16_kernelILj54ELj9ELj6E21rocsparse_complex_numIfEEEvi20rocsparse_direction_NS_24const_host_device_scalarIT2_EEPKiS8_PKS5_iiSA_S6_PS5_21rocsparse_index_base_b ; -- Begin function _ZN9rocsparseL22gebsrmvn_mxn_16_kernelILj54ELj9ELj6E21rocsparse_complex_numIfEEEvi20rocsparse_direction_NS_24const_host_device_scalarIT2_EEPKiS8_PKS5_iiSA_S6_PS5_21rocsparse_index_base_b
	.p2align	8
	.type	_ZN9rocsparseL22gebsrmvn_mxn_16_kernelILj54ELj9ELj6E21rocsparse_complex_numIfEEEvi20rocsparse_direction_NS_24const_host_device_scalarIT2_EEPKiS8_PKS5_iiSA_S6_PS5_21rocsparse_index_base_b,@function
_ZN9rocsparseL22gebsrmvn_mxn_16_kernelILj54ELj9ELj6E21rocsparse_complex_numIfEEEvi20rocsparse_direction_NS_24const_host_device_scalarIT2_EEPKiS8_PKS5_iiSA_S6_PS5_21rocsparse_index_base_b: ; @_ZN9rocsparseL22gebsrmvn_mxn_16_kernelILj54ELj9ELj6E21rocsparse_complex_numIfEEEvi20rocsparse_direction_NS_24const_host_device_scalarIT2_EEPKiS8_PKS5_iiSA_S6_PS5_21rocsparse_index_base_b
; %bb.0:
	s_load_dwordx2 s[0:1], s[4:5], 0x8
	s_load_dwordx2 s[2:3], s[4:5], 0x38
	;; [unrolled: 1-line block ×3, first 2 shown]
	s_add_u32 s7, s4, 8
	s_addc_u32 s8, s5, 0
	s_add_u32 s9, s4, 56
	s_addc_u32 s12, s5, 0
	s_waitcnt lgkmcnt(0)
	s_bitcmp1_b32 s11, 0
	s_cselect_b32 s1, s8, s1
	s_cselect_b32 s0, s7, s0
	v_mov_b32_e32 v1, s0
	v_mov_b32_e32 v2, s1
	flat_load_dwordx2 v[3:4], v[1:2]
	s_cselect_b32 s0, s12, s3
	s_cselect_b32 s1, s9, s2
	v_mov_b32_e32 v1, s1
	v_mov_b32_e32 v2, s0
	flat_load_dwordx2 v[1:2], v[1:2]
	s_waitcnt vmcnt(0) lgkmcnt(0)
	v_cmp_eq_f32_e32 vcc, 0, v3
	v_cmp_eq_f32_e64 s[0:1], 0, v4
	s_and_b64 s[8:9], vcc, s[0:1]
	s_mov_b64 s[0:1], -1
	s_and_saveexec_b64 s[2:3], s[8:9]
; %bb.1:
	v_cmp_neq_f32_e32 vcc, 1.0, v1
	v_cmp_neq_f32_e64 s[0:1], 0, v2
	s_or_b64 s[0:1], vcc, s[0:1]
	s_orn2_b64 s[0:1], s[0:1], exec
; %bb.2:
	s_or_b64 exec, exec, s[2:3]
	s_and_saveexec_b64 s[2:3], s[0:1]
	s_cbranch_execz .LBB73_35
; %bb.3:
	s_load_dwordx2 s[0:1], s[4:5], 0x10
	s_load_dword s2, s[4:5], 0x4
	v_mul_u32_u24_e32 v6, 0x2aab, v0
	v_mov_b32_e32 v5, 6
	v_mul_lo_u16_sdwa v6, v6, v5 dst_sel:DWORD dst_unused:UNUSED_PAD src0_sel:WORD_1 src1_sel:DWORD
	v_sub_u16_e32 v12, v0, v6
	s_waitcnt lgkmcnt(0)
	s_cmp_lg_u32 s2, 1
	s_cselect_b64 s[12:13], -1, 0
	s_and_b64 vcc, exec, s[12:13]
	v_mov_b32_e32 v7, v12
	s_cbranch_vccnz .LBB73_5
; %bb.4:
	s_movk_i32 s2, 0x1c72
	v_mul_u32_u24_sdwa v6, v0, s2 dst_sel:DWORD dst_unused:UNUSED_PAD src0_sel:WORD_0 src1_sel:DWORD
	v_mov_b32_e32 v7, 43
	v_mul_lo_u16_sdwa v7, v6, v7 dst_sel:DWORD dst_unused:UNUSED_PAD src0_sel:WORD_1 src1_sel:DWORD
	v_mul_lo_u16_sdwa v5, v7, v5 dst_sel:DWORD dst_unused:UNUSED_PAD src0_sel:BYTE_1 src1_sel:DWORD
	v_sub_u16_sdwa v5, v6, v5 dst_sel:DWORD dst_unused:UNUSED_PAD src0_sel:WORD_1 src1_sel:DWORD
	v_and_b32_e32 v7, 0xff, v5
.LBB73_5:
	s_ashr_i32 s7, s6, 31
	s_lshl_b64 s[2:3], s[6:7], 2
	s_add_u32 s0, s0, s2
	s_addc_u32 s1, s1, s3
	s_load_dwordx2 s[16:17], s[0:1], 0x0
	s_load_dwordx2 s[8:9], s[4:5], 0x40
	v_mov_b32_e32 v6, 0
	v_mov_b32_e32 v5, 0
	s_waitcnt lgkmcnt(0)
	s_cmp_ge_i32 s16, s17
	s_cbranch_scc1 .LBB73_10
; %bb.6:
	s_load_dwordx4 s[0:3], s[4:5], 0x18
	s_load_dwordx2 s[14:15], s[4:5], 0x30
	v_mad_u64_u32 v[5:6], s[4:5], s16, 54, v[0:1]
	s_movk_i32 s4, 0x4be
	v_mul_u32_u24_sdwa v13, v0, s4 dst_sel:DWORD dst_unused:UNUSED_PAD src0_sel:WORD_0 src1_sel:DWORD
	s_mul_i32 s4, s10, 54
	v_mov_b32_e32 v9, 0
	s_sub_i32 s7, s17, s10
	s_sub_i32 s11, s16, s10
	v_subrev_u32_e32 v8, s4, v5
	v_mov_b32_e32 v6, v9
	v_mov_b32_e32 v5, v9
	s_branch .LBB73_8
.LBB73_7:                               ;   in Loop: Header=BB73_8 Depth=1
	s_or_b64 exec, exec, s[4:5]
	s_add_i32 s11, s11, 1
	s_cmp_ge_i32 s11, s7
	v_add_u32_e32 v8, 54, v8
	s_cbranch_scc1 .LBB73_10
.LBB73_8:                               ; =>This Inner Loop Header: Depth=1
	v_add_u32_sdwa v10, v13, s11 dst_sel:DWORD dst_unused:UNUSED_PAD src0_sel:WORD_1 src1_sel:DWORD
	v_cmp_gt_i32_e32 vcc, s7, v10
	s_and_saveexec_b64 s[4:5], vcc
	s_cbranch_execz .LBB73_7
; %bb.9:                                ;   in Loop: Header=BB73_8 Depth=1
	v_ashrrev_i32_e32 v11, 31, v10
	v_lshlrev_b64 v[10:11], 2, v[10:11]
	s_waitcnt lgkmcnt(0)
	v_mov_b32_e32 v14, s1
	v_add_co_u32_e32 v10, vcc, s0, v10
	v_addc_co_u32_e32 v11, vcc, v14, v11, vcc
	global_load_dword v14, v[10:11], off
	v_lshlrev_b64 v[10:11], 3, v[8:9]
	v_mov_b32_e32 v16, s3
	v_add_co_u32_e32 v10, vcc, s2, v10
	v_addc_co_u32_e32 v11, vcc, v16, v11, vcc
	v_mov_b32_e32 v17, s15
	global_load_dwordx2 v[10:11], v[10:11], off
	s_waitcnt vmcnt(1)
	v_subrev_u32_e32 v14, s10, v14
	v_mad_u64_u32 v[14:15], s[16:17], v14, 6, v[7:8]
	v_ashrrev_i32_e32 v15, 31, v14
	v_lshlrev_b64 v[14:15], 3, v[14:15]
	v_add_co_u32_e32 v14, vcc, s14, v14
	v_addc_co_u32_e32 v15, vcc, v17, v15, vcc
	global_load_dwordx2 v[14:15], v[14:15], off
	s_waitcnt vmcnt(0)
	v_fmac_f32_e32 v5, v10, v14
	v_fmac_f32_e32 v6, v11, v14
	v_fma_f32 v5, -v11, v15, v5
	v_fmac_f32_e32 v6, v10, v15
	s_branch .LBB73_7
.LBB73_10:
	v_lshlrev_b32_e32 v9, 3, v0
	s_and_b64 vcc, exec, s[12:13]
	ds_write_b64 v9, v[5:6]
	s_waitcnt lgkmcnt(0)
	; wave barrier
	s_cbranch_vccz .LBB73_20
; %bb.11:
	v_cmp_gt_u16_e32 vcc, 2, v12
	s_and_saveexec_b64 s[0:1], vcc
	s_cbranch_execz .LBB73_13
; %bb.12:
	ds_read2_b64 v[13:16], v9 offset1:4
	s_waitcnt lgkmcnt(0)
	v_add_f32_e32 v7, v15, v13
	v_add_f32_e32 v8, v16, v14
	ds_write_b64 v9, v[7:8]
.LBB73_13:
	s_or_b64 exec, exec, s[0:1]
	s_waitcnt lgkmcnt(0)
	; wave barrier
	s_and_saveexec_b64 s[0:1], vcc
	s_cbranch_execz .LBB73_15
; %bb.14:
	ds_read2_b64 v[13:16], v9 offset1:2
	s_waitcnt lgkmcnt(0)
	v_add_f32_e32 v7, v15, v13
	v_add_f32_e32 v8, v16, v14
	ds_write_b64 v9, v[7:8]
.LBB73_15:
	s_or_b64 exec, exec, s[0:1]
	v_cmp_eq_u16_e32 vcc, 0, v12
	s_waitcnt lgkmcnt(0)
	; wave barrier
	s_and_saveexec_b64 s[0:1], vcc
	s_cbranch_execz .LBB73_17
; %bb.16:
	ds_read2_b64 v[10:13], v9 offset1:1
	s_waitcnt lgkmcnt(0)
	v_add_f32_e32 v7, v12, v10
	v_add_f32_e32 v8, v13, v11
	ds_write_b64 v9, v[7:8]
.LBB73_17:
	s_or_b64 exec, exec, s[0:1]
	v_cmp_gt_u32_e32 vcc, 9, v0
	v_mov_b32_e32 v8, v6
	v_mov_b32_e32 v7, v5
	s_waitcnt lgkmcnt(0)
	; wave barrier
	s_and_saveexec_b64 s[0:1], vcc
; %bb.18:
	v_mad_u32_u24 v7, v0, 40, v9
	ds_read_b64 v[7:8], v7
; %bb.19:
	s_or_b64 exec, exec, s[0:1]
	s_branch .LBB73_30
.LBB73_20:
                                        ; implicit-def: $vgpr8
	s_cbranch_execz .LBB73_30
; %bb.21:
	v_cmp_gt_u32_e32 vcc, 18, v0
	s_and_saveexec_b64 s[0:1], vcc
	s_cbranch_execz .LBB73_23
; %bb.22:
	ds_read2_b64 v[10:13], v9 offset1:36
	s_waitcnt lgkmcnt(0)
	v_add_f32_e32 v7, v12, v10
	v_add_f32_e32 v8, v13, v11
	ds_write_b64 v9, v[7:8]
.LBB73_23:
	s_or_b64 exec, exec, s[0:1]
	s_waitcnt lgkmcnt(0)
	; wave barrier
	s_and_saveexec_b64 s[0:1], vcc
	s_cbranch_execz .LBB73_25
; %bb.24:
	ds_read2_b64 v[10:13], v9 offset1:18
	s_waitcnt lgkmcnt(0)
	v_add_f32_e32 v7, v12, v10
	v_add_f32_e32 v8, v13, v11
	ds_write_b64 v9, v[7:8]
.LBB73_25:
	s_or_b64 exec, exec, s[0:1]
	v_cmp_lt_u32_e32 vcc, 8, v0
	s_waitcnt lgkmcnt(0)
	s_and_saveexec_b64 s[0:1], vcc
	s_xor_b64 s[0:1], exec, s[0:1]
; %bb.26:
                                        ; implicit-def: $vgpr9
; %bb.27:
	s_andn2_saveexec_b64 s[0:1], s[0:1]
	s_cbranch_execz .LBB73_29
; %bb.28:
	ds_read2_b64 v[5:8], v9 offset1:9
	s_waitcnt lgkmcnt(0)
	v_add_f32_e32 v5, v7, v5
	v_add_f32_e32 v6, v8, v6
	ds_write_b64 v9, v[5:6]
	s_waitcnt lgkmcnt(0)
	ds_read_b64 v[5:6], v9
.LBB73_29:
	s_or_b64 exec, exec, s[0:1]
	s_waitcnt lgkmcnt(0)
	v_mov_b32_e32 v8, v6
	v_mov_b32_e32 v7, v5
.LBB73_30:
	v_cmp_gt_u32_e32 vcc, 9, v0
	s_and_b64 exec, exec, vcc
	s_cbranch_execz .LBB73_35
; %bb.31:
	v_cmp_eq_f32_e32 vcc, 0, v1
	v_cmp_eq_f32_e64 s[0:1], 0, v2
	s_waitcnt lgkmcnt(0)
	v_mul_f32_e64 v5, v8, -v4
	v_mul_f32_e32 v6, v3, v8
	s_and_b64 s[0:1], vcc, s[0:1]
	v_fmac_f32_e32 v5, v3, v7
	v_fmac_f32_e32 v6, v4, v7
	s_and_saveexec_b64 s[2:3], s[0:1]
	s_xor_b64 s[0:1], exec, s[2:3]
	s_cbranch_execz .LBB73_33
; %bb.32:
	v_mad_u64_u32 v[0:1], s[2:3], s6, 9, v[0:1]
	v_mov_b32_e32 v1, 0
	v_mov_b32_e32 v2, s9
	v_lshlrev_b64 v[0:1], 3, v[0:1]
	v_add_co_u32_e32 v0, vcc, s8, v0
	v_addc_co_u32_e32 v1, vcc, v2, v1, vcc
	global_store_dwordx2 v[0:1], v[5:6], off
                                        ; implicit-def: $vgpr0
                                        ; implicit-def: $vgpr1_vgpr2
                                        ; implicit-def: $vgpr5
.LBB73_33:
	s_andn2_saveexec_b64 s[0:1], s[0:1]
	s_cbranch_execz .LBB73_35
; %bb.34:
	v_mad_u64_u32 v[3:4], s[0:1], s6, 9, v[0:1]
	v_mov_b32_e32 v4, 0
	v_mov_b32_e32 v0, s9
	v_lshlrev_b64 v[3:4], 3, v[3:4]
	v_add_co_u32_e32 v3, vcc, s8, v3
	v_addc_co_u32_e32 v4, vcc, v0, v4, vcc
	global_load_dwordx2 v[7:8], v[3:4], off
	s_waitcnt vmcnt(0)
	v_fmac_f32_e32 v5, v1, v7
	v_fmac_f32_e32 v6, v2, v7
	v_fma_f32 v5, -v2, v8, v5
	v_fmac_f32_e32 v6, v1, v8
	global_store_dwordx2 v[3:4], v[5:6], off
.LBB73_35:
	s_endpgm
	.section	.rodata,"a",@progbits
	.p2align	6, 0x0
	.amdhsa_kernel _ZN9rocsparseL22gebsrmvn_mxn_16_kernelILj54ELj9ELj6E21rocsparse_complex_numIfEEEvi20rocsparse_direction_NS_24const_host_device_scalarIT2_EEPKiS8_PKS5_iiSA_S6_PS5_21rocsparse_index_base_b
		.amdhsa_group_segment_fixed_size 432
		.amdhsa_private_segment_fixed_size 0
		.amdhsa_kernarg_size 80
		.amdhsa_user_sgpr_count 6
		.amdhsa_user_sgpr_private_segment_buffer 1
		.amdhsa_user_sgpr_dispatch_ptr 0
		.amdhsa_user_sgpr_queue_ptr 0
		.amdhsa_user_sgpr_kernarg_segment_ptr 1
		.amdhsa_user_sgpr_dispatch_id 0
		.amdhsa_user_sgpr_flat_scratch_init 0
		.amdhsa_user_sgpr_private_segment_size 0
		.amdhsa_uses_dynamic_stack 0
		.amdhsa_system_sgpr_private_segment_wavefront_offset 0
		.amdhsa_system_sgpr_workgroup_id_x 1
		.amdhsa_system_sgpr_workgroup_id_y 0
		.amdhsa_system_sgpr_workgroup_id_z 0
		.amdhsa_system_sgpr_workgroup_info 0
		.amdhsa_system_vgpr_workitem_id 0
		.amdhsa_next_free_vgpr 18
		.amdhsa_next_free_sgpr 18
		.amdhsa_reserve_vcc 1
		.amdhsa_reserve_flat_scratch 0
		.amdhsa_float_round_mode_32 0
		.amdhsa_float_round_mode_16_64 0
		.amdhsa_float_denorm_mode_32 3
		.amdhsa_float_denorm_mode_16_64 3
		.amdhsa_dx10_clamp 1
		.amdhsa_ieee_mode 1
		.amdhsa_fp16_overflow 0
		.amdhsa_exception_fp_ieee_invalid_op 0
		.amdhsa_exception_fp_denorm_src 0
		.amdhsa_exception_fp_ieee_div_zero 0
		.amdhsa_exception_fp_ieee_overflow 0
		.amdhsa_exception_fp_ieee_underflow 0
		.amdhsa_exception_fp_ieee_inexact 0
		.amdhsa_exception_int_div_zero 0
	.end_amdhsa_kernel
	.section	.text._ZN9rocsparseL22gebsrmvn_mxn_16_kernelILj54ELj9ELj6E21rocsparse_complex_numIfEEEvi20rocsparse_direction_NS_24const_host_device_scalarIT2_EEPKiS8_PKS5_iiSA_S6_PS5_21rocsparse_index_base_b,"axG",@progbits,_ZN9rocsparseL22gebsrmvn_mxn_16_kernelILj54ELj9ELj6E21rocsparse_complex_numIfEEEvi20rocsparse_direction_NS_24const_host_device_scalarIT2_EEPKiS8_PKS5_iiSA_S6_PS5_21rocsparse_index_base_b,comdat
.Lfunc_end73:
	.size	_ZN9rocsparseL22gebsrmvn_mxn_16_kernelILj54ELj9ELj6E21rocsparse_complex_numIfEEEvi20rocsparse_direction_NS_24const_host_device_scalarIT2_EEPKiS8_PKS5_iiSA_S6_PS5_21rocsparse_index_base_b, .Lfunc_end73-_ZN9rocsparseL22gebsrmvn_mxn_16_kernelILj54ELj9ELj6E21rocsparse_complex_numIfEEEvi20rocsparse_direction_NS_24const_host_device_scalarIT2_EEPKiS8_PKS5_iiSA_S6_PS5_21rocsparse_index_base_b
                                        ; -- End function
	.set _ZN9rocsparseL22gebsrmvn_mxn_16_kernelILj54ELj9ELj6E21rocsparse_complex_numIfEEEvi20rocsparse_direction_NS_24const_host_device_scalarIT2_EEPKiS8_PKS5_iiSA_S6_PS5_21rocsparse_index_base_b.num_vgpr, 18
	.set _ZN9rocsparseL22gebsrmvn_mxn_16_kernelILj54ELj9ELj6E21rocsparse_complex_numIfEEEvi20rocsparse_direction_NS_24const_host_device_scalarIT2_EEPKiS8_PKS5_iiSA_S6_PS5_21rocsparse_index_base_b.num_agpr, 0
	.set _ZN9rocsparseL22gebsrmvn_mxn_16_kernelILj54ELj9ELj6E21rocsparse_complex_numIfEEEvi20rocsparse_direction_NS_24const_host_device_scalarIT2_EEPKiS8_PKS5_iiSA_S6_PS5_21rocsparse_index_base_b.numbered_sgpr, 18
	.set _ZN9rocsparseL22gebsrmvn_mxn_16_kernelILj54ELj9ELj6E21rocsparse_complex_numIfEEEvi20rocsparse_direction_NS_24const_host_device_scalarIT2_EEPKiS8_PKS5_iiSA_S6_PS5_21rocsparse_index_base_b.num_named_barrier, 0
	.set _ZN9rocsparseL22gebsrmvn_mxn_16_kernelILj54ELj9ELj6E21rocsparse_complex_numIfEEEvi20rocsparse_direction_NS_24const_host_device_scalarIT2_EEPKiS8_PKS5_iiSA_S6_PS5_21rocsparse_index_base_b.private_seg_size, 0
	.set _ZN9rocsparseL22gebsrmvn_mxn_16_kernelILj54ELj9ELj6E21rocsparse_complex_numIfEEEvi20rocsparse_direction_NS_24const_host_device_scalarIT2_EEPKiS8_PKS5_iiSA_S6_PS5_21rocsparse_index_base_b.uses_vcc, 1
	.set _ZN9rocsparseL22gebsrmvn_mxn_16_kernelILj54ELj9ELj6E21rocsparse_complex_numIfEEEvi20rocsparse_direction_NS_24const_host_device_scalarIT2_EEPKiS8_PKS5_iiSA_S6_PS5_21rocsparse_index_base_b.uses_flat_scratch, 0
	.set _ZN9rocsparseL22gebsrmvn_mxn_16_kernelILj54ELj9ELj6E21rocsparse_complex_numIfEEEvi20rocsparse_direction_NS_24const_host_device_scalarIT2_EEPKiS8_PKS5_iiSA_S6_PS5_21rocsparse_index_base_b.has_dyn_sized_stack, 0
	.set _ZN9rocsparseL22gebsrmvn_mxn_16_kernelILj54ELj9ELj6E21rocsparse_complex_numIfEEEvi20rocsparse_direction_NS_24const_host_device_scalarIT2_EEPKiS8_PKS5_iiSA_S6_PS5_21rocsparse_index_base_b.has_recursion, 0
	.set _ZN9rocsparseL22gebsrmvn_mxn_16_kernelILj54ELj9ELj6E21rocsparse_complex_numIfEEEvi20rocsparse_direction_NS_24const_host_device_scalarIT2_EEPKiS8_PKS5_iiSA_S6_PS5_21rocsparse_index_base_b.has_indirect_call, 0
	.section	.AMDGPU.csdata,"",@progbits
; Kernel info:
; codeLenInByte = 1132
; TotalNumSgprs: 22
; NumVgprs: 18
; ScratchSize: 0
; MemoryBound: 0
; FloatMode: 240
; IeeeMode: 1
; LDSByteSize: 432 bytes/workgroup (compile time only)
; SGPRBlocks: 2
; VGPRBlocks: 4
; NumSGPRsForWavesPerEU: 22
; NumVGPRsForWavesPerEU: 18
; Occupancy: 10
; WaveLimiterHint : 1
; COMPUTE_PGM_RSRC2:SCRATCH_EN: 0
; COMPUTE_PGM_RSRC2:USER_SGPR: 6
; COMPUTE_PGM_RSRC2:TRAP_HANDLER: 0
; COMPUTE_PGM_RSRC2:TGID_X_EN: 1
; COMPUTE_PGM_RSRC2:TGID_Y_EN: 0
; COMPUTE_PGM_RSRC2:TGID_Z_EN: 0
; COMPUTE_PGM_RSRC2:TIDIG_COMP_CNT: 0
	.section	.text._ZN9rocsparseL22gebsrmvn_mxn_16_kernelILj63ELj9ELj7E21rocsparse_complex_numIfEEEvi20rocsparse_direction_NS_24const_host_device_scalarIT2_EEPKiS8_PKS5_iiSA_S6_PS5_21rocsparse_index_base_b,"axG",@progbits,_ZN9rocsparseL22gebsrmvn_mxn_16_kernelILj63ELj9ELj7E21rocsparse_complex_numIfEEEvi20rocsparse_direction_NS_24const_host_device_scalarIT2_EEPKiS8_PKS5_iiSA_S6_PS5_21rocsparse_index_base_b,comdat
	.globl	_ZN9rocsparseL22gebsrmvn_mxn_16_kernelILj63ELj9ELj7E21rocsparse_complex_numIfEEEvi20rocsparse_direction_NS_24const_host_device_scalarIT2_EEPKiS8_PKS5_iiSA_S6_PS5_21rocsparse_index_base_b ; -- Begin function _ZN9rocsparseL22gebsrmvn_mxn_16_kernelILj63ELj9ELj7E21rocsparse_complex_numIfEEEvi20rocsparse_direction_NS_24const_host_device_scalarIT2_EEPKiS8_PKS5_iiSA_S6_PS5_21rocsparse_index_base_b
	.p2align	8
	.type	_ZN9rocsparseL22gebsrmvn_mxn_16_kernelILj63ELj9ELj7E21rocsparse_complex_numIfEEEvi20rocsparse_direction_NS_24const_host_device_scalarIT2_EEPKiS8_PKS5_iiSA_S6_PS5_21rocsparse_index_base_b,@function
_ZN9rocsparseL22gebsrmvn_mxn_16_kernelILj63ELj9ELj7E21rocsparse_complex_numIfEEEvi20rocsparse_direction_NS_24const_host_device_scalarIT2_EEPKiS8_PKS5_iiSA_S6_PS5_21rocsparse_index_base_b: ; @_ZN9rocsparseL22gebsrmvn_mxn_16_kernelILj63ELj9ELj7E21rocsparse_complex_numIfEEEvi20rocsparse_direction_NS_24const_host_device_scalarIT2_EEPKiS8_PKS5_iiSA_S6_PS5_21rocsparse_index_base_b
; %bb.0:
	s_load_dwordx2 s[0:1], s[4:5], 0x8
	s_load_dwordx2 s[2:3], s[4:5], 0x38
	;; [unrolled: 1-line block ×3, first 2 shown]
	s_add_u32 s7, s4, 8
	s_addc_u32 s8, s5, 0
	s_add_u32 s9, s4, 56
	s_addc_u32 s12, s5, 0
	s_waitcnt lgkmcnt(0)
	s_bitcmp1_b32 s11, 0
	s_cselect_b32 s1, s8, s1
	s_cselect_b32 s0, s7, s0
	v_mov_b32_e32 v1, s0
	v_mov_b32_e32 v2, s1
	flat_load_dwordx2 v[3:4], v[1:2]
	s_cselect_b32 s0, s12, s3
	s_cselect_b32 s1, s9, s2
	v_mov_b32_e32 v1, s1
	v_mov_b32_e32 v2, s0
	flat_load_dwordx2 v[1:2], v[1:2]
	s_waitcnt vmcnt(0) lgkmcnt(0)
	v_cmp_eq_f32_e32 vcc, 0, v3
	v_cmp_eq_f32_e64 s[0:1], 0, v4
	s_and_b64 s[8:9], vcc, s[0:1]
	s_mov_b64 s[0:1], -1
	s_and_saveexec_b64 s[2:3], s[8:9]
; %bb.1:
	v_cmp_neq_f32_e32 vcc, 1.0, v1
	v_cmp_neq_f32_e64 s[0:1], 0, v2
	s_or_b64 s[0:1], vcc, s[0:1]
	s_orn2_b64 s[0:1], s[0:1], exec
; %bb.2:
	s_or_b64 exec, exec, s[2:3]
	s_and_saveexec_b64 s[2:3], s[0:1]
	s_cbranch_execz .LBB74_35
; %bb.3:
	s_load_dwordx2 s[0:1], s[4:5], 0x10
	s_load_dword s2, s[4:5], 0x4
	v_mul_u32_u24_e32 v6, 0x2493, v0
	v_mov_b32_e32 v5, 7
	v_mul_lo_u16_sdwa v6, v6, v5 dst_sel:DWORD dst_unused:UNUSED_PAD src0_sel:WORD_1 src1_sel:DWORD
	v_sub_u16_e32 v12, v0, v6
	s_waitcnt lgkmcnt(0)
	s_cmp_lg_u32 s2, 1
	s_cselect_b64 s[12:13], -1, 0
	s_and_b64 vcc, exec, s[12:13]
	v_mov_b32_e32 v7, v12
	s_cbranch_vccnz .LBB74_5
; %bb.4:
	s_movk_i32 s2, 0x1c72
	v_mul_u32_u24_sdwa v6, v0, s2 dst_sel:DWORD dst_unused:UNUSED_PAD src0_sel:WORD_0 src1_sel:DWORD
	v_mov_b32_e32 v7, 37
	v_mul_lo_u16_sdwa v7, v6, v7 dst_sel:DWORD dst_unused:UNUSED_PAD src0_sel:WORD_1 src1_sel:DWORD
	v_mul_lo_u16_sdwa v5, v7, v5 dst_sel:DWORD dst_unused:UNUSED_PAD src0_sel:BYTE_1 src1_sel:DWORD
	v_sub_u16_sdwa v5, v6, v5 dst_sel:DWORD dst_unused:UNUSED_PAD src0_sel:WORD_1 src1_sel:DWORD
	v_and_b32_e32 v7, 0xff, v5
.LBB74_5:
	s_ashr_i32 s7, s6, 31
	s_lshl_b64 s[2:3], s[6:7], 2
	s_add_u32 s0, s0, s2
	s_addc_u32 s1, s1, s3
	s_load_dwordx2 s[16:17], s[0:1], 0x0
	s_load_dwordx2 s[8:9], s[4:5], 0x40
	v_mov_b32_e32 v6, 0
	v_mov_b32_e32 v5, 0
	s_waitcnt lgkmcnt(0)
	s_cmp_ge_i32 s16, s17
	s_cbranch_scc1 .LBB74_10
; %bb.6:
	s_load_dwordx4 s[0:3], s[4:5], 0x18
	s_load_dwordx2 s[14:15], s[4:5], 0x30
	v_mad_u64_u32 v[5:6], s[4:5], s16, 63, v[0:1]
	s_movk_i32 s4, 0x411
	v_mul_u32_u24_sdwa v13, v0, s4 dst_sel:DWORD dst_unused:UNUSED_PAD src0_sel:WORD_0 src1_sel:DWORD
	s_mul_i32 s4, s10, 63
	v_mov_b32_e32 v9, 0
	s_sub_i32 s7, s17, s10
	s_sub_i32 s11, s16, s10
	v_subrev_u32_e32 v8, s4, v5
	v_mov_b32_e32 v6, v9
	v_mov_b32_e32 v5, v9
	s_branch .LBB74_8
.LBB74_7:                               ;   in Loop: Header=BB74_8 Depth=1
	s_or_b64 exec, exec, s[4:5]
	s_add_i32 s11, s11, 1
	s_cmp_ge_i32 s11, s7
	v_add_u32_e32 v8, 63, v8
	s_cbranch_scc1 .LBB74_10
.LBB74_8:                               ; =>This Inner Loop Header: Depth=1
	v_add_u32_sdwa v10, v13, s11 dst_sel:DWORD dst_unused:UNUSED_PAD src0_sel:WORD_1 src1_sel:DWORD
	v_cmp_gt_i32_e32 vcc, s7, v10
	s_and_saveexec_b64 s[4:5], vcc
	s_cbranch_execz .LBB74_7
; %bb.9:                                ;   in Loop: Header=BB74_8 Depth=1
	v_ashrrev_i32_e32 v11, 31, v10
	v_lshlrev_b64 v[10:11], 2, v[10:11]
	s_waitcnt lgkmcnt(0)
	v_mov_b32_e32 v14, s1
	v_add_co_u32_e32 v10, vcc, s0, v10
	v_addc_co_u32_e32 v11, vcc, v14, v11, vcc
	global_load_dword v14, v[10:11], off
	v_lshlrev_b64 v[10:11], 3, v[8:9]
	v_mov_b32_e32 v16, s3
	v_add_co_u32_e32 v10, vcc, s2, v10
	v_addc_co_u32_e32 v11, vcc, v16, v11, vcc
	v_mov_b32_e32 v17, s15
	global_load_dwordx2 v[10:11], v[10:11], off
	s_waitcnt vmcnt(1)
	v_subrev_u32_e32 v14, s10, v14
	v_mad_u64_u32 v[14:15], s[16:17], v14, 7, v[7:8]
	v_ashrrev_i32_e32 v15, 31, v14
	v_lshlrev_b64 v[14:15], 3, v[14:15]
	v_add_co_u32_e32 v14, vcc, s14, v14
	v_addc_co_u32_e32 v15, vcc, v17, v15, vcc
	global_load_dwordx2 v[14:15], v[14:15], off
	s_waitcnt vmcnt(0)
	v_fmac_f32_e32 v5, v10, v14
	v_fmac_f32_e32 v6, v11, v14
	v_fma_f32 v5, -v11, v15, v5
	v_fmac_f32_e32 v6, v10, v15
	s_branch .LBB74_7
.LBB74_10:
	v_lshlrev_b32_e32 v9, 3, v0
	s_and_b64 vcc, exec, s[12:13]
	ds_write_b64 v9, v[5:6]
	s_waitcnt lgkmcnt(0)
	; wave barrier
	s_cbranch_vccz .LBB74_20
; %bb.11:
	v_cmp_gt_u16_e32 vcc, 3, v12
	s_and_saveexec_b64 s[0:1], vcc
	s_cbranch_execz .LBB74_13
; %bb.12:
	ds_read2_b64 v[13:16], v9 offset1:4
	s_waitcnt lgkmcnt(0)
	v_add_f32_e32 v7, v15, v13
	v_add_f32_e32 v8, v16, v14
	ds_write_b64 v9, v[7:8]
.LBB74_13:
	s_or_b64 exec, exec, s[0:1]
	v_cmp_gt_u16_e32 vcc, 2, v12
	s_waitcnt lgkmcnt(0)
	; wave barrier
	s_and_saveexec_b64 s[0:1], vcc
	s_cbranch_execz .LBB74_15
; %bb.14:
	ds_read2_b64 v[13:16], v9 offset1:2
	s_waitcnt lgkmcnt(0)
	v_add_f32_e32 v7, v15, v13
	v_add_f32_e32 v8, v16, v14
	ds_write_b64 v9, v[7:8]
.LBB74_15:
	s_or_b64 exec, exec, s[0:1]
	v_cmp_eq_u16_e32 vcc, 0, v12
	s_waitcnt lgkmcnt(0)
	; wave barrier
	s_and_saveexec_b64 s[0:1], vcc
	s_cbranch_execz .LBB74_17
; %bb.16:
	ds_read2_b64 v[10:13], v9 offset1:1
	s_waitcnt lgkmcnt(0)
	v_add_f32_e32 v7, v12, v10
	v_add_f32_e32 v8, v13, v11
	ds_write_b64 v9, v[7:8]
.LBB74_17:
	s_or_b64 exec, exec, s[0:1]
	v_cmp_gt_u32_e32 vcc, 9, v0
	v_mov_b32_e32 v8, v6
	v_mov_b32_e32 v7, v5
	s_waitcnt lgkmcnt(0)
	; wave barrier
	s_and_saveexec_b64 s[0:1], vcc
; %bb.18:
	v_mad_u32_u24 v7, v0, 48, v9
	ds_read_b64 v[7:8], v7
; %bb.19:
	s_or_b64 exec, exec, s[0:1]
	s_branch .LBB74_30
.LBB74_20:
                                        ; implicit-def: $vgpr8
	s_cbranch_execz .LBB74_30
; %bb.21:
	v_cmp_gt_u32_e32 vcc, 27, v0
	s_and_saveexec_b64 s[0:1], vcc
	s_cbranch_execz .LBB74_23
; %bb.22:
	ds_read2_b64 v[10:13], v9 offset1:36
	s_waitcnt lgkmcnt(0)
	v_add_f32_e32 v7, v12, v10
	v_add_f32_e32 v8, v13, v11
	ds_write_b64 v9, v[7:8]
.LBB74_23:
	s_or_b64 exec, exec, s[0:1]
	v_cmp_gt_u32_e32 vcc, 18, v0
	s_waitcnt lgkmcnt(0)
	; wave barrier
	s_and_saveexec_b64 s[0:1], vcc
	s_cbranch_execz .LBB74_25
; %bb.24:
	ds_read2_b64 v[10:13], v9 offset1:18
	s_waitcnt lgkmcnt(0)
	v_add_f32_e32 v7, v12, v10
	v_add_f32_e32 v8, v13, v11
	ds_write_b64 v9, v[7:8]
.LBB74_25:
	s_or_b64 exec, exec, s[0:1]
	v_cmp_lt_u32_e32 vcc, 8, v0
	s_waitcnt lgkmcnt(0)
	s_and_saveexec_b64 s[0:1], vcc
	s_xor_b64 s[0:1], exec, s[0:1]
; %bb.26:
                                        ; implicit-def: $vgpr9
; %bb.27:
	s_andn2_saveexec_b64 s[0:1], s[0:1]
	s_cbranch_execz .LBB74_29
; %bb.28:
	ds_read2_b64 v[5:8], v9 offset1:9
	s_waitcnt lgkmcnt(0)
	v_add_f32_e32 v5, v7, v5
	v_add_f32_e32 v6, v8, v6
	ds_write_b64 v9, v[5:6]
	s_waitcnt lgkmcnt(0)
	ds_read_b64 v[5:6], v9
.LBB74_29:
	s_or_b64 exec, exec, s[0:1]
	s_waitcnt lgkmcnt(0)
	v_mov_b32_e32 v8, v6
	v_mov_b32_e32 v7, v5
.LBB74_30:
	v_cmp_gt_u32_e32 vcc, 9, v0
	s_and_b64 exec, exec, vcc
	s_cbranch_execz .LBB74_35
; %bb.31:
	v_cmp_eq_f32_e32 vcc, 0, v1
	v_cmp_eq_f32_e64 s[0:1], 0, v2
	s_waitcnt lgkmcnt(0)
	v_mul_f32_e64 v5, v8, -v4
	v_mul_f32_e32 v6, v3, v8
	s_and_b64 s[0:1], vcc, s[0:1]
	v_fmac_f32_e32 v5, v3, v7
	v_fmac_f32_e32 v6, v4, v7
	s_and_saveexec_b64 s[2:3], s[0:1]
	s_xor_b64 s[0:1], exec, s[2:3]
	s_cbranch_execz .LBB74_33
; %bb.32:
	v_mad_u64_u32 v[0:1], s[2:3], s6, 9, v[0:1]
	v_mov_b32_e32 v1, 0
	v_mov_b32_e32 v2, s9
	v_lshlrev_b64 v[0:1], 3, v[0:1]
	v_add_co_u32_e32 v0, vcc, s8, v0
	v_addc_co_u32_e32 v1, vcc, v2, v1, vcc
	global_store_dwordx2 v[0:1], v[5:6], off
                                        ; implicit-def: $vgpr0
                                        ; implicit-def: $vgpr1_vgpr2
                                        ; implicit-def: $vgpr5
.LBB74_33:
	s_andn2_saveexec_b64 s[0:1], s[0:1]
	s_cbranch_execz .LBB74_35
; %bb.34:
	v_mad_u64_u32 v[3:4], s[0:1], s6, 9, v[0:1]
	v_mov_b32_e32 v4, 0
	v_mov_b32_e32 v0, s9
	v_lshlrev_b64 v[3:4], 3, v[3:4]
	v_add_co_u32_e32 v3, vcc, s8, v3
	v_addc_co_u32_e32 v4, vcc, v0, v4, vcc
	global_load_dwordx2 v[7:8], v[3:4], off
	s_waitcnt vmcnt(0)
	v_fmac_f32_e32 v5, v1, v7
	v_fmac_f32_e32 v6, v2, v7
	v_fma_f32 v5, -v2, v8, v5
	v_fmac_f32_e32 v6, v1, v8
	global_store_dwordx2 v[3:4], v[5:6], off
.LBB74_35:
	s_endpgm
	.section	.rodata,"a",@progbits
	.p2align	6, 0x0
	.amdhsa_kernel _ZN9rocsparseL22gebsrmvn_mxn_16_kernelILj63ELj9ELj7E21rocsparse_complex_numIfEEEvi20rocsparse_direction_NS_24const_host_device_scalarIT2_EEPKiS8_PKS5_iiSA_S6_PS5_21rocsparse_index_base_b
		.amdhsa_group_segment_fixed_size 504
		.amdhsa_private_segment_fixed_size 0
		.amdhsa_kernarg_size 80
		.amdhsa_user_sgpr_count 6
		.amdhsa_user_sgpr_private_segment_buffer 1
		.amdhsa_user_sgpr_dispatch_ptr 0
		.amdhsa_user_sgpr_queue_ptr 0
		.amdhsa_user_sgpr_kernarg_segment_ptr 1
		.amdhsa_user_sgpr_dispatch_id 0
		.amdhsa_user_sgpr_flat_scratch_init 0
		.amdhsa_user_sgpr_private_segment_size 0
		.amdhsa_uses_dynamic_stack 0
		.amdhsa_system_sgpr_private_segment_wavefront_offset 0
		.amdhsa_system_sgpr_workgroup_id_x 1
		.amdhsa_system_sgpr_workgroup_id_y 0
		.amdhsa_system_sgpr_workgroup_id_z 0
		.amdhsa_system_sgpr_workgroup_info 0
		.amdhsa_system_vgpr_workitem_id 0
		.amdhsa_next_free_vgpr 18
		.amdhsa_next_free_sgpr 18
		.amdhsa_reserve_vcc 1
		.amdhsa_reserve_flat_scratch 0
		.amdhsa_float_round_mode_32 0
		.amdhsa_float_round_mode_16_64 0
		.amdhsa_float_denorm_mode_32 3
		.amdhsa_float_denorm_mode_16_64 3
		.amdhsa_dx10_clamp 1
		.amdhsa_ieee_mode 1
		.amdhsa_fp16_overflow 0
		.amdhsa_exception_fp_ieee_invalid_op 0
		.amdhsa_exception_fp_denorm_src 0
		.amdhsa_exception_fp_ieee_div_zero 0
		.amdhsa_exception_fp_ieee_overflow 0
		.amdhsa_exception_fp_ieee_underflow 0
		.amdhsa_exception_fp_ieee_inexact 0
		.amdhsa_exception_int_div_zero 0
	.end_amdhsa_kernel
	.section	.text._ZN9rocsparseL22gebsrmvn_mxn_16_kernelILj63ELj9ELj7E21rocsparse_complex_numIfEEEvi20rocsparse_direction_NS_24const_host_device_scalarIT2_EEPKiS8_PKS5_iiSA_S6_PS5_21rocsparse_index_base_b,"axG",@progbits,_ZN9rocsparseL22gebsrmvn_mxn_16_kernelILj63ELj9ELj7E21rocsparse_complex_numIfEEEvi20rocsparse_direction_NS_24const_host_device_scalarIT2_EEPKiS8_PKS5_iiSA_S6_PS5_21rocsparse_index_base_b,comdat
.Lfunc_end74:
	.size	_ZN9rocsparseL22gebsrmvn_mxn_16_kernelILj63ELj9ELj7E21rocsparse_complex_numIfEEEvi20rocsparse_direction_NS_24const_host_device_scalarIT2_EEPKiS8_PKS5_iiSA_S6_PS5_21rocsparse_index_base_b, .Lfunc_end74-_ZN9rocsparseL22gebsrmvn_mxn_16_kernelILj63ELj9ELj7E21rocsparse_complex_numIfEEEvi20rocsparse_direction_NS_24const_host_device_scalarIT2_EEPKiS8_PKS5_iiSA_S6_PS5_21rocsparse_index_base_b
                                        ; -- End function
	.set _ZN9rocsparseL22gebsrmvn_mxn_16_kernelILj63ELj9ELj7E21rocsparse_complex_numIfEEEvi20rocsparse_direction_NS_24const_host_device_scalarIT2_EEPKiS8_PKS5_iiSA_S6_PS5_21rocsparse_index_base_b.num_vgpr, 18
	.set _ZN9rocsparseL22gebsrmvn_mxn_16_kernelILj63ELj9ELj7E21rocsparse_complex_numIfEEEvi20rocsparse_direction_NS_24const_host_device_scalarIT2_EEPKiS8_PKS5_iiSA_S6_PS5_21rocsparse_index_base_b.num_agpr, 0
	.set _ZN9rocsparseL22gebsrmvn_mxn_16_kernelILj63ELj9ELj7E21rocsparse_complex_numIfEEEvi20rocsparse_direction_NS_24const_host_device_scalarIT2_EEPKiS8_PKS5_iiSA_S6_PS5_21rocsparse_index_base_b.numbered_sgpr, 18
	.set _ZN9rocsparseL22gebsrmvn_mxn_16_kernelILj63ELj9ELj7E21rocsparse_complex_numIfEEEvi20rocsparse_direction_NS_24const_host_device_scalarIT2_EEPKiS8_PKS5_iiSA_S6_PS5_21rocsparse_index_base_b.num_named_barrier, 0
	.set _ZN9rocsparseL22gebsrmvn_mxn_16_kernelILj63ELj9ELj7E21rocsparse_complex_numIfEEEvi20rocsparse_direction_NS_24const_host_device_scalarIT2_EEPKiS8_PKS5_iiSA_S6_PS5_21rocsparse_index_base_b.private_seg_size, 0
	.set _ZN9rocsparseL22gebsrmvn_mxn_16_kernelILj63ELj9ELj7E21rocsparse_complex_numIfEEEvi20rocsparse_direction_NS_24const_host_device_scalarIT2_EEPKiS8_PKS5_iiSA_S6_PS5_21rocsparse_index_base_b.uses_vcc, 1
	.set _ZN9rocsparseL22gebsrmvn_mxn_16_kernelILj63ELj9ELj7E21rocsparse_complex_numIfEEEvi20rocsparse_direction_NS_24const_host_device_scalarIT2_EEPKiS8_PKS5_iiSA_S6_PS5_21rocsparse_index_base_b.uses_flat_scratch, 0
	.set _ZN9rocsparseL22gebsrmvn_mxn_16_kernelILj63ELj9ELj7E21rocsparse_complex_numIfEEEvi20rocsparse_direction_NS_24const_host_device_scalarIT2_EEPKiS8_PKS5_iiSA_S6_PS5_21rocsparse_index_base_b.has_dyn_sized_stack, 0
	.set _ZN9rocsparseL22gebsrmvn_mxn_16_kernelILj63ELj9ELj7E21rocsparse_complex_numIfEEEvi20rocsparse_direction_NS_24const_host_device_scalarIT2_EEPKiS8_PKS5_iiSA_S6_PS5_21rocsparse_index_base_b.has_recursion, 0
	.set _ZN9rocsparseL22gebsrmvn_mxn_16_kernelILj63ELj9ELj7E21rocsparse_complex_numIfEEEvi20rocsparse_direction_NS_24const_host_device_scalarIT2_EEPKiS8_PKS5_iiSA_S6_PS5_21rocsparse_index_base_b.has_indirect_call, 0
	.section	.AMDGPU.csdata,"",@progbits
; Kernel info:
; codeLenInByte = 1140
; TotalNumSgprs: 22
; NumVgprs: 18
; ScratchSize: 0
; MemoryBound: 0
; FloatMode: 240
; IeeeMode: 1
; LDSByteSize: 504 bytes/workgroup (compile time only)
; SGPRBlocks: 2
; VGPRBlocks: 4
; NumSGPRsForWavesPerEU: 22
; NumVGPRsForWavesPerEU: 18
; Occupancy: 10
; WaveLimiterHint : 1
; COMPUTE_PGM_RSRC2:SCRATCH_EN: 0
; COMPUTE_PGM_RSRC2:USER_SGPR: 6
; COMPUTE_PGM_RSRC2:TRAP_HANDLER: 0
; COMPUTE_PGM_RSRC2:TGID_X_EN: 1
; COMPUTE_PGM_RSRC2:TGID_Y_EN: 0
; COMPUTE_PGM_RSRC2:TGID_Z_EN: 0
; COMPUTE_PGM_RSRC2:TIDIG_COMP_CNT: 0
	.section	.text._ZN9rocsparseL22gebsrmvn_mxn_16_kernelILj72ELj9ELj8E21rocsparse_complex_numIfEEEvi20rocsparse_direction_NS_24const_host_device_scalarIT2_EEPKiS8_PKS5_iiSA_S6_PS5_21rocsparse_index_base_b,"axG",@progbits,_ZN9rocsparseL22gebsrmvn_mxn_16_kernelILj72ELj9ELj8E21rocsparse_complex_numIfEEEvi20rocsparse_direction_NS_24const_host_device_scalarIT2_EEPKiS8_PKS5_iiSA_S6_PS5_21rocsparse_index_base_b,comdat
	.globl	_ZN9rocsparseL22gebsrmvn_mxn_16_kernelILj72ELj9ELj8E21rocsparse_complex_numIfEEEvi20rocsparse_direction_NS_24const_host_device_scalarIT2_EEPKiS8_PKS5_iiSA_S6_PS5_21rocsparse_index_base_b ; -- Begin function _ZN9rocsparseL22gebsrmvn_mxn_16_kernelILj72ELj9ELj8E21rocsparse_complex_numIfEEEvi20rocsparse_direction_NS_24const_host_device_scalarIT2_EEPKiS8_PKS5_iiSA_S6_PS5_21rocsparse_index_base_b
	.p2align	8
	.type	_ZN9rocsparseL22gebsrmvn_mxn_16_kernelILj72ELj9ELj8E21rocsparse_complex_numIfEEEvi20rocsparse_direction_NS_24const_host_device_scalarIT2_EEPKiS8_PKS5_iiSA_S6_PS5_21rocsparse_index_base_b,@function
_ZN9rocsparseL22gebsrmvn_mxn_16_kernelILj72ELj9ELj8E21rocsparse_complex_numIfEEEvi20rocsparse_direction_NS_24const_host_device_scalarIT2_EEPKiS8_PKS5_iiSA_S6_PS5_21rocsparse_index_base_b: ; @_ZN9rocsparseL22gebsrmvn_mxn_16_kernelILj72ELj9ELj8E21rocsparse_complex_numIfEEEvi20rocsparse_direction_NS_24const_host_device_scalarIT2_EEPKiS8_PKS5_iiSA_S6_PS5_21rocsparse_index_base_b
; %bb.0:
	s_load_dwordx2 s[0:1], s[4:5], 0x8
	s_load_dwordx2 s[2:3], s[4:5], 0x38
	;; [unrolled: 1-line block ×3, first 2 shown]
	s_add_u32 s7, s4, 8
	s_addc_u32 s8, s5, 0
	s_add_u32 s9, s4, 56
	s_addc_u32 s12, s5, 0
	s_waitcnt lgkmcnt(0)
	s_bitcmp1_b32 s11, 0
	s_cselect_b32 s1, s8, s1
	s_cselect_b32 s0, s7, s0
	v_mov_b32_e32 v1, s0
	v_mov_b32_e32 v2, s1
	flat_load_dwordx2 v[3:4], v[1:2]
	s_cselect_b32 s0, s12, s3
	s_cselect_b32 s1, s9, s2
	v_mov_b32_e32 v1, s1
	v_mov_b32_e32 v2, s0
	flat_load_dwordx2 v[1:2], v[1:2]
	s_waitcnt vmcnt(0) lgkmcnt(0)
	v_cmp_eq_f32_e32 vcc, 0, v3
	v_cmp_eq_f32_e64 s[0:1], 0, v4
	s_and_b64 s[8:9], vcc, s[0:1]
	s_mov_b64 s[0:1], -1
	s_and_saveexec_b64 s[2:3], s[8:9]
; %bb.1:
	v_cmp_neq_f32_e32 vcc, 1.0, v1
	v_cmp_neq_f32_e64 s[0:1], 0, v2
	s_or_b64 s[0:1], vcc, s[0:1]
	s_orn2_b64 s[0:1], s[0:1], exec
; %bb.2:
	s_or_b64 exec, exec, s[2:3]
	s_and_saveexec_b64 s[2:3], s[0:1]
	s_cbranch_execz .LBB75_35
; %bb.3:
	s_load_dword s2, s[4:5], 0x4
	s_load_dwordx2 s[0:1], s[4:5], 0x10
	v_and_b32_e32 v11, 7, v0
	v_mov_b32_e32 v12, v11
	s_waitcnt lgkmcnt(0)
	s_cmp_lg_u32 s2, 1
	s_cselect_b64 s[12:13], -1, 0
	s_and_b64 vcc, exec, s[12:13]
	s_cbranch_vccnz .LBB75_5
; %bb.4:
	v_mul_u32_u24_e32 v5, 0x1c72, v0
	v_bfe_u32 v12, v5, 16, 3
.LBB75_5:
	s_ashr_i32 s7, s6, 31
	s_lshl_b64 s[2:3], s[6:7], 2
	s_add_u32 s0, s0, s2
	s_addc_u32 s1, s1, s3
	s_load_dwordx2 s[16:17], s[0:1], 0x0
	s_load_dwordx2 s[8:9], s[4:5], 0x40
	v_mov_b32_e32 v6, 0
	v_mov_b32_e32 v5, 0
	s_waitcnt lgkmcnt(0)
	s_cmp_ge_i32 s16, s17
	s_cbranch_scc1 .LBB75_10
; %bb.6:
	s_load_dwordx4 s[0:3], s[4:5], 0x18
	s_load_dwordx2 s[14:15], s[4:5], 0x30
	s_mul_i32 s4, s16, 0x48
	v_add_u32_e32 v5, s4, v0
	s_mul_i32 s4, s10, 0x48
	v_mov_b32_e32 v8, 0
	s_sub_i32 s7, s17, s10
	s_sub_i32 s11, s16, s10
	v_mul_u32_u24_e32 v13, 0x38f, v0
	v_subrev_u32_e32 v7, s4, v5
	v_mov_b32_e32 v6, v8
	v_mov_b32_e32 v5, v8
	s_branch .LBB75_8
.LBB75_7:                               ;   in Loop: Header=BB75_8 Depth=1
	s_or_b64 exec, exec, s[4:5]
	s_add_i32 s11, s11, 1
	s_cmp_ge_i32 s11, s7
	v_add_u32_e32 v7, 0x48, v7
	s_cbranch_scc1 .LBB75_10
.LBB75_8:                               ; =>This Inner Loop Header: Depth=1
	v_add_u32_sdwa v9, v13, s11 dst_sel:DWORD dst_unused:UNUSED_PAD src0_sel:WORD_1 src1_sel:DWORD
	v_cmp_gt_i32_e32 vcc, s7, v9
	s_and_saveexec_b64 s[4:5], vcc
	s_cbranch_execz .LBB75_7
; %bb.9:                                ;   in Loop: Header=BB75_8 Depth=1
	v_ashrrev_i32_e32 v10, 31, v9
	v_lshlrev_b64 v[9:10], 2, v[9:10]
	s_waitcnt lgkmcnt(0)
	v_mov_b32_e32 v14, s1
	v_add_co_u32_e32 v9, vcc, s0, v9
	v_addc_co_u32_e32 v10, vcc, v14, v10, vcc
	global_load_dword v14, v[9:10], off
	v_lshlrev_b64 v[9:10], 3, v[7:8]
	v_mov_b32_e32 v15, s3
	v_add_co_u32_e32 v9, vcc, s2, v9
	v_addc_co_u32_e32 v10, vcc, v15, v10, vcc
	v_mov_b32_e32 v16, s15
	global_load_dwordx2 v[9:10], v[9:10], off
	s_waitcnt vmcnt(1)
	v_subrev_u32_e32 v14, s10, v14
	v_lshl_or_b32 v14, v14, 3, v12
	v_ashrrev_i32_e32 v15, 31, v14
	v_lshlrev_b64 v[14:15], 3, v[14:15]
	v_add_co_u32_e32 v14, vcc, s14, v14
	v_addc_co_u32_e32 v15, vcc, v16, v15, vcc
	global_load_dwordx2 v[14:15], v[14:15], off
	s_waitcnt vmcnt(0)
	v_fmac_f32_e32 v5, v9, v14
	v_fmac_f32_e32 v6, v10, v14
	v_fma_f32 v5, -v10, v15, v5
	v_fmac_f32_e32 v6, v9, v15
	s_branch .LBB75_7
.LBB75_10:
	v_lshlrev_b32_e32 v9, 3, v0
	s_and_b64 vcc, exec, s[12:13]
	ds_write_b64 v9, v[5:6]
	s_waitcnt lgkmcnt(0)
	s_barrier
	s_cbranch_vccz .LBB75_20
; %bb.11:
	v_cmp_gt_u32_e32 vcc, 4, v11
	s_and_saveexec_b64 s[0:1], vcc
	s_cbranch_execz .LBB75_13
; %bb.12:
	ds_read2_b64 v[12:15], v9 offset1:4
	s_waitcnt lgkmcnt(0)
	v_add_f32_e32 v7, v14, v12
	v_add_f32_e32 v8, v15, v13
	ds_write_b64 v9, v[7:8]
.LBB75_13:
	s_or_b64 exec, exec, s[0:1]
	v_cmp_gt_u32_e32 vcc, 2, v11
	s_waitcnt lgkmcnt(0)
	s_barrier
	s_and_saveexec_b64 s[0:1], vcc
	s_cbranch_execz .LBB75_15
; %bb.14:
	ds_read2_b64 v[12:15], v9 offset1:2
	s_waitcnt lgkmcnt(0)
	v_add_f32_e32 v7, v14, v12
	v_add_f32_e32 v8, v15, v13
	ds_write_b64 v9, v[7:8]
.LBB75_15:
	s_or_b64 exec, exec, s[0:1]
	v_cmp_eq_u32_e32 vcc, 0, v11
	s_waitcnt lgkmcnt(0)
	s_barrier
	s_and_saveexec_b64 s[0:1], vcc
	s_cbranch_execz .LBB75_17
; %bb.16:
	ds_read2_b64 v[10:13], v9 offset1:1
	s_waitcnt lgkmcnt(0)
	v_add_f32_e32 v7, v12, v10
	v_add_f32_e32 v8, v13, v11
	ds_write_b64 v9, v[7:8]
.LBB75_17:
	s_or_b64 exec, exec, s[0:1]
	v_cmp_gt_u32_e32 vcc, 9, v0
	v_mov_b32_e32 v8, v6
	v_mov_b32_e32 v7, v5
	s_waitcnt lgkmcnt(0)
	s_barrier
	s_and_saveexec_b64 s[0:1], vcc
; %bb.18:
	v_mad_u32_u24 v7, v0, 56, v9
	ds_read_b64 v[7:8], v7
; %bb.19:
	s_or_b64 exec, exec, s[0:1]
	s_branch .LBB75_30
.LBB75_20:
                                        ; implicit-def: $vgpr8
	s_cbranch_execz .LBB75_30
; %bb.21:
	v_cmp_gt_u32_e32 vcc, 36, v0
	s_and_saveexec_b64 s[0:1], vcc
	s_cbranch_execz .LBB75_23
; %bb.22:
	ds_read2_b64 v[10:13], v9 offset1:36
	s_waitcnt lgkmcnt(0)
	v_add_f32_e32 v7, v12, v10
	v_add_f32_e32 v8, v13, v11
	ds_write_b64 v9, v[7:8]
.LBB75_23:
	s_or_b64 exec, exec, s[0:1]
	v_cmp_gt_u32_e32 vcc, 18, v0
	s_waitcnt lgkmcnt(0)
	s_barrier
	s_and_saveexec_b64 s[0:1], vcc
	s_cbranch_execz .LBB75_25
; %bb.24:
	ds_read2_b64 v[10:13], v9 offset1:18
	s_waitcnt lgkmcnt(0)
	v_add_f32_e32 v7, v12, v10
	v_add_f32_e32 v8, v13, v11
	ds_write_b64 v9, v[7:8]
.LBB75_25:
	s_or_b64 exec, exec, s[0:1]
	v_cmp_lt_u32_e32 vcc, 8, v0
	s_waitcnt lgkmcnt(0)
	s_and_saveexec_b64 s[0:1], vcc
	s_xor_b64 s[0:1], exec, s[0:1]
; %bb.26:
                                        ; implicit-def: $vgpr9
; %bb.27:
	s_andn2_saveexec_b64 s[0:1], s[0:1]
	s_cbranch_execz .LBB75_29
; %bb.28:
	ds_read2_b64 v[5:8], v9 offset1:9
	s_waitcnt lgkmcnt(0)
	v_add_f32_e32 v5, v7, v5
	v_add_f32_e32 v6, v8, v6
	ds_write_b64 v9, v[5:6]
	s_waitcnt lgkmcnt(0)
	ds_read_b64 v[5:6], v9
.LBB75_29:
	s_or_b64 exec, exec, s[0:1]
	s_waitcnt lgkmcnt(0)
	v_mov_b32_e32 v8, v6
	v_mov_b32_e32 v7, v5
.LBB75_30:
	v_cmp_gt_u32_e32 vcc, 9, v0
	s_and_b64 exec, exec, vcc
	s_cbranch_execz .LBB75_35
; %bb.31:
	v_cmp_eq_f32_e32 vcc, 0, v1
	v_cmp_eq_f32_e64 s[0:1], 0, v2
	s_waitcnt lgkmcnt(0)
	v_mul_f32_e64 v5, v8, -v4
	v_mul_f32_e32 v6, v3, v8
	s_and_b64 s[0:1], vcc, s[0:1]
	v_fmac_f32_e32 v5, v3, v7
	v_fmac_f32_e32 v6, v4, v7
	s_and_saveexec_b64 s[2:3], s[0:1]
	s_xor_b64 s[0:1], exec, s[2:3]
	s_cbranch_execz .LBB75_33
; %bb.32:
	v_mad_u64_u32 v[0:1], s[2:3], s6, 9, v[0:1]
	v_mov_b32_e32 v1, 0
	v_mov_b32_e32 v2, s9
	v_lshlrev_b64 v[0:1], 3, v[0:1]
	v_add_co_u32_e32 v0, vcc, s8, v0
	v_addc_co_u32_e32 v1, vcc, v2, v1, vcc
	global_store_dwordx2 v[0:1], v[5:6], off
                                        ; implicit-def: $vgpr0
                                        ; implicit-def: $vgpr1_vgpr2
                                        ; implicit-def: $vgpr5
.LBB75_33:
	s_andn2_saveexec_b64 s[0:1], s[0:1]
	s_cbranch_execz .LBB75_35
; %bb.34:
	v_mad_u64_u32 v[3:4], s[0:1], s6, 9, v[0:1]
	v_mov_b32_e32 v4, 0
	v_mov_b32_e32 v0, s9
	v_lshlrev_b64 v[3:4], 3, v[3:4]
	v_add_co_u32_e32 v3, vcc, s8, v3
	v_addc_co_u32_e32 v4, vcc, v0, v4, vcc
	global_load_dwordx2 v[7:8], v[3:4], off
	s_waitcnt vmcnt(0)
	v_fmac_f32_e32 v5, v1, v7
	v_fmac_f32_e32 v6, v2, v7
	v_fma_f32 v5, -v2, v8, v5
	v_fmac_f32_e32 v6, v1, v8
	global_store_dwordx2 v[3:4], v[5:6], off
.LBB75_35:
	s_endpgm
	.section	.rodata,"a",@progbits
	.p2align	6, 0x0
	.amdhsa_kernel _ZN9rocsparseL22gebsrmvn_mxn_16_kernelILj72ELj9ELj8E21rocsparse_complex_numIfEEEvi20rocsparse_direction_NS_24const_host_device_scalarIT2_EEPKiS8_PKS5_iiSA_S6_PS5_21rocsparse_index_base_b
		.amdhsa_group_segment_fixed_size 576
		.amdhsa_private_segment_fixed_size 0
		.amdhsa_kernarg_size 80
		.amdhsa_user_sgpr_count 6
		.amdhsa_user_sgpr_private_segment_buffer 1
		.amdhsa_user_sgpr_dispatch_ptr 0
		.amdhsa_user_sgpr_queue_ptr 0
		.amdhsa_user_sgpr_kernarg_segment_ptr 1
		.amdhsa_user_sgpr_dispatch_id 0
		.amdhsa_user_sgpr_flat_scratch_init 0
		.amdhsa_user_sgpr_private_segment_size 0
		.amdhsa_uses_dynamic_stack 0
		.amdhsa_system_sgpr_private_segment_wavefront_offset 0
		.amdhsa_system_sgpr_workgroup_id_x 1
		.amdhsa_system_sgpr_workgroup_id_y 0
		.amdhsa_system_sgpr_workgroup_id_z 0
		.amdhsa_system_sgpr_workgroup_info 0
		.amdhsa_system_vgpr_workitem_id 0
		.amdhsa_next_free_vgpr 17
		.amdhsa_next_free_sgpr 18
		.amdhsa_reserve_vcc 1
		.amdhsa_reserve_flat_scratch 0
		.amdhsa_float_round_mode_32 0
		.amdhsa_float_round_mode_16_64 0
		.amdhsa_float_denorm_mode_32 3
		.amdhsa_float_denorm_mode_16_64 3
		.amdhsa_dx10_clamp 1
		.amdhsa_ieee_mode 1
		.amdhsa_fp16_overflow 0
		.amdhsa_exception_fp_ieee_invalid_op 0
		.amdhsa_exception_fp_denorm_src 0
		.amdhsa_exception_fp_ieee_div_zero 0
		.amdhsa_exception_fp_ieee_overflow 0
		.amdhsa_exception_fp_ieee_underflow 0
		.amdhsa_exception_fp_ieee_inexact 0
		.amdhsa_exception_int_div_zero 0
	.end_amdhsa_kernel
	.section	.text._ZN9rocsparseL22gebsrmvn_mxn_16_kernelILj72ELj9ELj8E21rocsparse_complex_numIfEEEvi20rocsparse_direction_NS_24const_host_device_scalarIT2_EEPKiS8_PKS5_iiSA_S6_PS5_21rocsparse_index_base_b,"axG",@progbits,_ZN9rocsparseL22gebsrmvn_mxn_16_kernelILj72ELj9ELj8E21rocsparse_complex_numIfEEEvi20rocsparse_direction_NS_24const_host_device_scalarIT2_EEPKiS8_PKS5_iiSA_S6_PS5_21rocsparse_index_base_b,comdat
.Lfunc_end75:
	.size	_ZN9rocsparseL22gebsrmvn_mxn_16_kernelILj72ELj9ELj8E21rocsparse_complex_numIfEEEvi20rocsparse_direction_NS_24const_host_device_scalarIT2_EEPKiS8_PKS5_iiSA_S6_PS5_21rocsparse_index_base_b, .Lfunc_end75-_ZN9rocsparseL22gebsrmvn_mxn_16_kernelILj72ELj9ELj8E21rocsparse_complex_numIfEEEvi20rocsparse_direction_NS_24const_host_device_scalarIT2_EEPKiS8_PKS5_iiSA_S6_PS5_21rocsparse_index_base_b
                                        ; -- End function
	.set _ZN9rocsparseL22gebsrmvn_mxn_16_kernelILj72ELj9ELj8E21rocsparse_complex_numIfEEEvi20rocsparse_direction_NS_24const_host_device_scalarIT2_EEPKiS8_PKS5_iiSA_S6_PS5_21rocsparse_index_base_b.num_vgpr, 17
	.set _ZN9rocsparseL22gebsrmvn_mxn_16_kernelILj72ELj9ELj8E21rocsparse_complex_numIfEEEvi20rocsparse_direction_NS_24const_host_device_scalarIT2_EEPKiS8_PKS5_iiSA_S6_PS5_21rocsparse_index_base_b.num_agpr, 0
	.set _ZN9rocsparseL22gebsrmvn_mxn_16_kernelILj72ELj9ELj8E21rocsparse_complex_numIfEEEvi20rocsparse_direction_NS_24const_host_device_scalarIT2_EEPKiS8_PKS5_iiSA_S6_PS5_21rocsparse_index_base_b.numbered_sgpr, 18
	.set _ZN9rocsparseL22gebsrmvn_mxn_16_kernelILj72ELj9ELj8E21rocsparse_complex_numIfEEEvi20rocsparse_direction_NS_24const_host_device_scalarIT2_EEPKiS8_PKS5_iiSA_S6_PS5_21rocsparse_index_base_b.num_named_barrier, 0
	.set _ZN9rocsparseL22gebsrmvn_mxn_16_kernelILj72ELj9ELj8E21rocsparse_complex_numIfEEEvi20rocsparse_direction_NS_24const_host_device_scalarIT2_EEPKiS8_PKS5_iiSA_S6_PS5_21rocsparse_index_base_b.private_seg_size, 0
	.set _ZN9rocsparseL22gebsrmvn_mxn_16_kernelILj72ELj9ELj8E21rocsparse_complex_numIfEEEvi20rocsparse_direction_NS_24const_host_device_scalarIT2_EEPKiS8_PKS5_iiSA_S6_PS5_21rocsparse_index_base_b.uses_vcc, 1
	.set _ZN9rocsparseL22gebsrmvn_mxn_16_kernelILj72ELj9ELj8E21rocsparse_complex_numIfEEEvi20rocsparse_direction_NS_24const_host_device_scalarIT2_EEPKiS8_PKS5_iiSA_S6_PS5_21rocsparse_index_base_b.uses_flat_scratch, 0
	.set _ZN9rocsparseL22gebsrmvn_mxn_16_kernelILj72ELj9ELj8E21rocsparse_complex_numIfEEEvi20rocsparse_direction_NS_24const_host_device_scalarIT2_EEPKiS8_PKS5_iiSA_S6_PS5_21rocsparse_index_base_b.has_dyn_sized_stack, 0
	.set _ZN9rocsparseL22gebsrmvn_mxn_16_kernelILj72ELj9ELj8E21rocsparse_complex_numIfEEEvi20rocsparse_direction_NS_24const_host_device_scalarIT2_EEPKiS8_PKS5_iiSA_S6_PS5_21rocsparse_index_base_b.has_recursion, 0
	.set _ZN9rocsparseL22gebsrmvn_mxn_16_kernelILj72ELj9ELj8E21rocsparse_complex_numIfEEEvi20rocsparse_direction_NS_24const_host_device_scalarIT2_EEPKiS8_PKS5_iiSA_S6_PS5_21rocsparse_index_base_b.has_indirect_call, 0
	.section	.AMDGPU.csdata,"",@progbits
; Kernel info:
; codeLenInByte = 1116
; TotalNumSgprs: 22
; NumVgprs: 17
; ScratchSize: 0
; MemoryBound: 0
; FloatMode: 240
; IeeeMode: 1
; LDSByteSize: 576 bytes/workgroup (compile time only)
; SGPRBlocks: 2
; VGPRBlocks: 4
; NumSGPRsForWavesPerEU: 22
; NumVGPRsForWavesPerEU: 17
; Occupancy: 10
; WaveLimiterHint : 1
; COMPUTE_PGM_RSRC2:SCRATCH_EN: 0
; COMPUTE_PGM_RSRC2:USER_SGPR: 6
; COMPUTE_PGM_RSRC2:TRAP_HANDLER: 0
; COMPUTE_PGM_RSRC2:TGID_X_EN: 1
; COMPUTE_PGM_RSRC2:TGID_Y_EN: 0
; COMPUTE_PGM_RSRC2:TGID_Z_EN: 0
; COMPUTE_PGM_RSRC2:TIDIG_COMP_CNT: 0
	.section	.text._ZN9rocsparseL23gebsrmvn_general_kernelILj256ELj16E21rocsparse_complex_numIfEEEvi20rocsparse_direction_NS_24const_host_device_scalarIT1_EEPKiS8_PKS5_iiSA_S6_PS5_21rocsparse_index_base_b,"axG",@progbits,_ZN9rocsparseL23gebsrmvn_general_kernelILj256ELj16E21rocsparse_complex_numIfEEEvi20rocsparse_direction_NS_24const_host_device_scalarIT1_EEPKiS8_PKS5_iiSA_S6_PS5_21rocsparse_index_base_b,comdat
	.globl	_ZN9rocsparseL23gebsrmvn_general_kernelILj256ELj16E21rocsparse_complex_numIfEEEvi20rocsparse_direction_NS_24const_host_device_scalarIT1_EEPKiS8_PKS5_iiSA_S6_PS5_21rocsparse_index_base_b ; -- Begin function _ZN9rocsparseL23gebsrmvn_general_kernelILj256ELj16E21rocsparse_complex_numIfEEEvi20rocsparse_direction_NS_24const_host_device_scalarIT1_EEPKiS8_PKS5_iiSA_S6_PS5_21rocsparse_index_base_b
	.p2align	8
	.type	_ZN9rocsparseL23gebsrmvn_general_kernelILj256ELj16E21rocsparse_complex_numIfEEEvi20rocsparse_direction_NS_24const_host_device_scalarIT1_EEPKiS8_PKS5_iiSA_S6_PS5_21rocsparse_index_base_b,@function
_ZN9rocsparseL23gebsrmvn_general_kernelILj256ELj16E21rocsparse_complex_numIfEEEvi20rocsparse_direction_NS_24const_host_device_scalarIT1_EEPKiS8_PKS5_iiSA_S6_PS5_21rocsparse_index_base_b: ; @_ZN9rocsparseL23gebsrmvn_general_kernelILj256ELj16E21rocsparse_complex_numIfEEEvi20rocsparse_direction_NS_24const_host_device_scalarIT1_EEPKiS8_PKS5_iiSA_S6_PS5_21rocsparse_index_base_b
; %bb.0:
	s_load_dwordx2 s[0:1], s[4:5], 0x8
	s_load_dwordx2 s[2:3], s[4:5], 0x38
	;; [unrolled: 1-line block ×3, first 2 shown]
	s_add_u32 s7, s4, 8
	s_addc_u32 s8, s5, 0
	s_add_u32 s9, s4, 56
	s_addc_u32 s10, s5, 0
	s_waitcnt lgkmcnt(0)
	s_bitcmp1_b32 s13, 0
	s_cselect_b32 s1, s8, s1
	s_cselect_b32 s0, s7, s0
	v_mov_b32_e32 v1, s0
	v_mov_b32_e32 v2, s1
	flat_load_dwordx2 v[1:2], v[1:2]
	s_cselect_b32 s0, s10, s3
	s_cselect_b32 s1, s9, s2
	v_mov_b32_e32 v3, s1
	v_mov_b32_e32 v4, s0
	flat_load_dwordx2 v[3:4], v[3:4]
	s_waitcnt vmcnt(0) lgkmcnt(0)
	v_cmp_eq_f32_e32 vcc, 0, v1
	v_cmp_eq_f32_e64 s[0:1], 0, v2
	s_and_b64 s[8:9], vcc, s[0:1]
	s_mov_b64 s[0:1], -1
	s_and_saveexec_b64 s[2:3], s[8:9]
; %bb.1:
	v_cmp_neq_f32_e32 vcc, 1.0, v3
	v_cmp_neq_f32_e64 s[0:1], 0, v4
	s_or_b64 s[0:1], vcc, s[0:1]
	s_orn2_b64 s[0:1], s[0:1], exec
; %bb.2:
	s_or_b64 exec, exec, s[2:3]
	s_and_saveexec_b64 s[2:3], s[0:1]
	s_cbranch_execz .LBB76_22
; %bb.3:
	s_load_dwordx2 s[14:15], s[4:5], 0x28
	v_lshrrev_b32_e32 v5, 4, v0
	s_waitcnt lgkmcnt(0)
	v_cmp_gt_i32_e32 vcc, s14, v5
	s_and_b64 exec, exec, vcc
	s_cbranch_execz .LBB76_22
; %bb.4:
	s_load_dwordx4 s[8:11], s[4:5], 0x10
	s_load_dword s20, s[4:5], 0x4
	s_ashr_i32 s7, s6, 31
	s_lshl_b64 s[0:1], s[6:7], 2
	v_cmp_eq_f32_e32 vcc, 0, v3
	s_waitcnt lgkmcnt(0)
	s_add_u32 s0, s8, s0
	s_addc_u32 s1, s9, s1
	s_load_dwordx2 s[2:3], s[0:1], 0x0
	s_load_dwordx2 s[8:9], s[4:5], 0x20
	;; [unrolled: 1-line block ×4, first 2 shown]
	v_cmp_eq_f32_e64 s[4:5], 0, v4
	s_waitcnt lgkmcnt(0)
	s_sub_i32 s13, s2, s12
	s_sub_i32 s33, s3, s12
	s_cmp_lt_i32 s2, s3
	s_cselect_b64 s[24:25], -1, 0
	s_cmp_lg_u32 s20, 0
	s_cselect_b64 s[20:21], -1, 0
	s_and_b64 s[22:23], vcc, s[4:5]
	s_mul_i32 s4, s14, s13
	v_add_u32_e32 v6, s4, v5
	v_mul_lo_u32 v10, s15, v6
	v_and_b32_e32 v0, 15, v0
	v_cndmask_b32_e64 v6, 0, 1, s[24:25]
	v_cmp_gt_i32_e64 s[0:1], s15, v0
	v_cmp_eq_u32_e64 s[2:3], 15, v0
	s_mul_i32 s34, s14, s6
	s_lshl_b32 s35, s15, 4
	s_mul_i32 s36, s15, s14
	s_mov_b64 s[6:7], 0
	v_cmp_ne_u32_e64 s[4:5], 1, v6
	s_branch .LBB76_6
.LBB76_5:                               ;   in Loop: Header=BB76_6 Depth=1
	s_or_b64 exec, exec, s[24:25]
	v_add_u32_e32 v5, 16, v5
	v_cmp_le_i32_e32 vcc, s14, v5
	s_or_b64 s[6:7], vcc, s[6:7]
	v_add_u32_e32 v10, s35, v10
	s_andn2_b64 exec, exec, s[6:7]
	s_cbranch_execz .LBB76_22
.LBB76_6:                               ; =>This Loop Header: Depth=1
                                        ;     Child Loop BB76_10 Depth 2
                                        ;       Child Loop BB76_13 Depth 3
	v_mov_b32_e32 v8, 0
	s_and_b64 vcc, exec, s[4:5]
	v_mov_b32_e32 v9, 0
	s_cbranch_vccnz .LBB76_17
; %bb.7:                                ;   in Loop: Header=BB76_6 Depth=1
	v_mov_b32_e32 v8, 0
	v_mov_b32_e32 v11, v10
	s_mov_b32 s24, s13
	v_mov_b32_e32 v9, 0
	s_branch .LBB76_10
.LBB76_8:                               ;   in Loop: Header=BB76_10 Depth=2
	s_or_b64 exec, exec, s[28:29]
.LBB76_9:                               ;   in Loop: Header=BB76_10 Depth=2
	s_or_b64 exec, exec, s[26:27]
	s_add_i32 s24, s24, 1
	s_cmp_ge_i32 s24, s33
	v_add_u32_e32 v11, s36, v11
	s_cbranch_scc1 .LBB76_17
.LBB76_10:                              ;   Parent Loop BB76_6 Depth=1
                                        ; =>  This Loop Header: Depth=2
                                        ;       Child Loop BB76_13 Depth 3
	s_and_saveexec_b64 s[26:27], s[0:1]
	s_cbranch_execz .LBB76_9
; %bb.11:                               ;   in Loop: Header=BB76_10 Depth=2
	s_ashr_i32 s25, s24, 31
	s_lshl_b64 s[28:29], s[24:25], 2
	s_add_u32 s28, s10, s28
	s_addc_u32 s29, s11, s29
	s_load_dword s30, s[28:29], 0x0
	s_mul_i32 s25, s24, s15
	s_mov_b64 s[28:29], 0
	v_mov_b32_e32 v12, v0
	s_waitcnt lgkmcnt(0)
	s_sub_i32 s37, s30, s12
	s_mul_i32 s37, s37, s15
	s_branch .LBB76_13
.LBB76_12:                              ;   in Loop: Header=BB76_13 Depth=3
	v_ashrrev_i32_e32 v7, 31, v6
	v_lshlrev_b64 v[6:7], 3, v[6:7]
	v_mov_b32_e32 v13, s9
	v_add_co_u32_e32 v6, vcc, s8, v6
	v_addc_co_u32_e32 v7, vcc, v13, v7, vcc
	v_add_u32_e32 v13, s37, v12
	v_ashrrev_i32_e32 v14, 31, v13
	v_lshlrev_b64 v[13:14], 3, v[13:14]
	v_mov_b32_e32 v15, s17
	v_add_co_u32_e32 v13, vcc, s16, v13
	v_addc_co_u32_e32 v14, vcc, v15, v14, vcc
	global_load_dwordx2 v[6:7], v[6:7], off
	v_add_u32_e32 v12, 16, v12
	global_load_dwordx2 v[13:14], v[13:14], off
	v_cmp_le_i32_e32 vcc, s15, v12
	s_or_b64 s[28:29], vcc, s[28:29]
	s_waitcnt vmcnt(0)
	v_fmac_f32_e32 v9, v6, v13
	v_fmac_f32_e32 v8, v7, v13
	v_fma_f32 v9, -v7, v14, v9
	v_fmac_f32_e32 v8, v6, v14
	s_andn2_b64 exec, exec, s[28:29]
	s_cbranch_execz .LBB76_8
.LBB76_13:                              ;   Parent Loop BB76_6 Depth=1
                                        ;     Parent Loop BB76_10 Depth=2
                                        ; =>    This Inner Loop Header: Depth=3
	s_and_b64 vcc, exec, s[20:21]
	s_cbranch_vccz .LBB76_15
; %bb.14:                               ;   in Loop: Header=BB76_13 Depth=3
	v_add_u32_e32 v6, s25, v12
	v_mad_u64_u32 v[6:7], s[30:31], v6, s14, v[5:6]
	s_cbranch_execnz .LBB76_12
	s_branch .LBB76_16
.LBB76_15:                              ;   in Loop: Header=BB76_13 Depth=3
                                        ; implicit-def: $vgpr6
.LBB76_16:                              ;   in Loop: Header=BB76_13 Depth=3
	v_add_u32_e32 v6, v11, v12
	s_branch .LBB76_12
.LBB76_17:                              ;   in Loop: Header=BB76_6 Depth=1
	s_nop 0
	v_mov_b32_dpp v6, v9 row_shr:1 row_mask:0xf bank_mask:0xf
	v_add_f32_e32 v6, v9, v6
	v_mov_b32_dpp v9, v8 row_shr:1 row_mask:0xf bank_mask:0xf
	v_add_f32_e32 v8, v8, v9
	;; [unrolled: 2-line block ×6, first 2 shown]
	v_mov_b32_dpp v7, v6 row_shr:8 row_mask:0xf bank_mask:0xc
	s_nop 0
	v_mov_b32_dpp v9, v8 row_shr:8 row_mask:0xf bank_mask:0xc
	s_and_saveexec_b64 s[24:25], s[2:3]
	s_cbranch_execz .LBB76_5
; %bb.18:                               ;   in Loop: Header=BB76_6 Depth=1
	v_add_f32_e32 v11, v6, v7
	v_add_f32_e32 v7, v8, v9
	v_mul_f32_e64 v6, v7, -v2
	v_mul_f32_e32 v7, v1, v7
	v_add_u32_e32 v8, s34, v5
	v_fmac_f32_e32 v6, v1, v11
	v_fmac_f32_e32 v7, v2, v11
	v_ashrrev_i32_e32 v9, 31, v8
	s_and_saveexec_b64 s[26:27], s[22:23]
	s_xor_b64 s[26:27], exec, s[26:27]
	s_cbranch_execz .LBB76_20
; %bb.19:                               ;   in Loop: Header=BB76_6 Depth=1
	v_lshlrev_b64 v[8:9], 3, v[8:9]
	v_mov_b32_e32 v11, s19
	v_add_co_u32_e32 v8, vcc, s18, v8
	v_addc_co_u32_e32 v9, vcc, v11, v9, vcc
	global_store_dwordx2 v[8:9], v[6:7], off
                                        ; implicit-def: $vgpr8
                                        ; implicit-def: $vgpr6
.LBB76_20:                              ;   in Loop: Header=BB76_6 Depth=1
	s_andn2_saveexec_b64 s[26:27], s[26:27]
	s_cbranch_execz .LBB76_5
; %bb.21:                               ;   in Loop: Header=BB76_6 Depth=1
	v_lshlrev_b64 v[8:9], 3, v[8:9]
	v_mov_b32_e32 v11, s19
	v_add_co_u32_e32 v8, vcc, s18, v8
	v_addc_co_u32_e32 v9, vcc, v11, v9, vcc
	global_load_dwordx2 v[11:12], v[8:9], off
	s_waitcnt vmcnt(0)
	v_fmac_f32_e32 v6, v3, v11
	v_fmac_f32_e32 v7, v4, v11
	v_fma_f32 v6, -v4, v12, v6
	v_fmac_f32_e32 v7, v3, v12
	global_store_dwordx2 v[8:9], v[6:7], off
	s_branch .LBB76_5
.LBB76_22:
	s_endpgm
	.section	.rodata,"a",@progbits
	.p2align	6, 0x0
	.amdhsa_kernel _ZN9rocsparseL23gebsrmvn_general_kernelILj256ELj16E21rocsparse_complex_numIfEEEvi20rocsparse_direction_NS_24const_host_device_scalarIT1_EEPKiS8_PKS5_iiSA_S6_PS5_21rocsparse_index_base_b
		.amdhsa_group_segment_fixed_size 0
		.amdhsa_private_segment_fixed_size 0
		.amdhsa_kernarg_size 80
		.amdhsa_user_sgpr_count 6
		.amdhsa_user_sgpr_private_segment_buffer 1
		.amdhsa_user_sgpr_dispatch_ptr 0
		.amdhsa_user_sgpr_queue_ptr 0
		.amdhsa_user_sgpr_kernarg_segment_ptr 1
		.amdhsa_user_sgpr_dispatch_id 0
		.amdhsa_user_sgpr_flat_scratch_init 0
		.amdhsa_user_sgpr_private_segment_size 0
		.amdhsa_uses_dynamic_stack 0
		.amdhsa_system_sgpr_private_segment_wavefront_offset 0
		.amdhsa_system_sgpr_workgroup_id_x 1
		.amdhsa_system_sgpr_workgroup_id_y 0
		.amdhsa_system_sgpr_workgroup_id_z 0
		.amdhsa_system_sgpr_workgroup_info 0
		.amdhsa_system_vgpr_workitem_id 0
		.amdhsa_next_free_vgpr 16
		.amdhsa_next_free_sgpr 38
		.amdhsa_reserve_vcc 1
		.amdhsa_reserve_flat_scratch 0
		.amdhsa_float_round_mode_32 0
		.amdhsa_float_round_mode_16_64 0
		.amdhsa_float_denorm_mode_32 3
		.amdhsa_float_denorm_mode_16_64 3
		.amdhsa_dx10_clamp 1
		.amdhsa_ieee_mode 1
		.amdhsa_fp16_overflow 0
		.amdhsa_exception_fp_ieee_invalid_op 0
		.amdhsa_exception_fp_denorm_src 0
		.amdhsa_exception_fp_ieee_div_zero 0
		.amdhsa_exception_fp_ieee_overflow 0
		.amdhsa_exception_fp_ieee_underflow 0
		.amdhsa_exception_fp_ieee_inexact 0
		.amdhsa_exception_int_div_zero 0
	.end_amdhsa_kernel
	.section	.text._ZN9rocsparseL23gebsrmvn_general_kernelILj256ELj16E21rocsparse_complex_numIfEEEvi20rocsparse_direction_NS_24const_host_device_scalarIT1_EEPKiS8_PKS5_iiSA_S6_PS5_21rocsparse_index_base_b,"axG",@progbits,_ZN9rocsparseL23gebsrmvn_general_kernelILj256ELj16E21rocsparse_complex_numIfEEEvi20rocsparse_direction_NS_24const_host_device_scalarIT1_EEPKiS8_PKS5_iiSA_S6_PS5_21rocsparse_index_base_b,comdat
.Lfunc_end76:
	.size	_ZN9rocsparseL23gebsrmvn_general_kernelILj256ELj16E21rocsparse_complex_numIfEEEvi20rocsparse_direction_NS_24const_host_device_scalarIT1_EEPKiS8_PKS5_iiSA_S6_PS5_21rocsparse_index_base_b, .Lfunc_end76-_ZN9rocsparseL23gebsrmvn_general_kernelILj256ELj16E21rocsparse_complex_numIfEEEvi20rocsparse_direction_NS_24const_host_device_scalarIT1_EEPKiS8_PKS5_iiSA_S6_PS5_21rocsparse_index_base_b
                                        ; -- End function
	.set _ZN9rocsparseL23gebsrmvn_general_kernelILj256ELj16E21rocsparse_complex_numIfEEEvi20rocsparse_direction_NS_24const_host_device_scalarIT1_EEPKiS8_PKS5_iiSA_S6_PS5_21rocsparse_index_base_b.num_vgpr, 16
	.set _ZN9rocsparseL23gebsrmvn_general_kernelILj256ELj16E21rocsparse_complex_numIfEEEvi20rocsparse_direction_NS_24const_host_device_scalarIT1_EEPKiS8_PKS5_iiSA_S6_PS5_21rocsparse_index_base_b.num_agpr, 0
	.set _ZN9rocsparseL23gebsrmvn_general_kernelILj256ELj16E21rocsparse_complex_numIfEEEvi20rocsparse_direction_NS_24const_host_device_scalarIT1_EEPKiS8_PKS5_iiSA_S6_PS5_21rocsparse_index_base_b.numbered_sgpr, 38
	.set _ZN9rocsparseL23gebsrmvn_general_kernelILj256ELj16E21rocsparse_complex_numIfEEEvi20rocsparse_direction_NS_24const_host_device_scalarIT1_EEPKiS8_PKS5_iiSA_S6_PS5_21rocsparse_index_base_b.num_named_barrier, 0
	.set _ZN9rocsparseL23gebsrmvn_general_kernelILj256ELj16E21rocsparse_complex_numIfEEEvi20rocsparse_direction_NS_24const_host_device_scalarIT1_EEPKiS8_PKS5_iiSA_S6_PS5_21rocsparse_index_base_b.private_seg_size, 0
	.set _ZN9rocsparseL23gebsrmvn_general_kernelILj256ELj16E21rocsparse_complex_numIfEEEvi20rocsparse_direction_NS_24const_host_device_scalarIT1_EEPKiS8_PKS5_iiSA_S6_PS5_21rocsparse_index_base_b.uses_vcc, 1
	.set _ZN9rocsparseL23gebsrmvn_general_kernelILj256ELj16E21rocsparse_complex_numIfEEEvi20rocsparse_direction_NS_24const_host_device_scalarIT1_EEPKiS8_PKS5_iiSA_S6_PS5_21rocsparse_index_base_b.uses_flat_scratch, 0
	.set _ZN9rocsparseL23gebsrmvn_general_kernelILj256ELj16E21rocsparse_complex_numIfEEEvi20rocsparse_direction_NS_24const_host_device_scalarIT1_EEPKiS8_PKS5_iiSA_S6_PS5_21rocsparse_index_base_b.has_dyn_sized_stack, 0
	.set _ZN9rocsparseL23gebsrmvn_general_kernelILj256ELj16E21rocsparse_complex_numIfEEEvi20rocsparse_direction_NS_24const_host_device_scalarIT1_EEPKiS8_PKS5_iiSA_S6_PS5_21rocsparse_index_base_b.has_recursion, 0
	.set _ZN9rocsparseL23gebsrmvn_general_kernelILj256ELj16E21rocsparse_complex_numIfEEEvi20rocsparse_direction_NS_24const_host_device_scalarIT1_EEPKiS8_PKS5_iiSA_S6_PS5_21rocsparse_index_base_b.has_indirect_call, 0
	.section	.AMDGPU.csdata,"",@progbits
; Kernel info:
; codeLenInByte = 920
; TotalNumSgprs: 42
; NumVgprs: 16
; ScratchSize: 0
; MemoryBound: 0
; FloatMode: 240
; IeeeMode: 1
; LDSByteSize: 0 bytes/workgroup (compile time only)
; SGPRBlocks: 5
; VGPRBlocks: 3
; NumSGPRsForWavesPerEU: 42
; NumVGPRsForWavesPerEU: 16
; Occupancy: 10
; WaveLimiterHint : 1
; COMPUTE_PGM_RSRC2:SCRATCH_EN: 0
; COMPUTE_PGM_RSRC2:USER_SGPR: 6
; COMPUTE_PGM_RSRC2:TRAP_HANDLER: 0
; COMPUTE_PGM_RSRC2:TGID_X_EN: 1
; COMPUTE_PGM_RSRC2:TGID_Y_EN: 0
; COMPUTE_PGM_RSRC2:TGID_Z_EN: 0
; COMPUTE_PGM_RSRC2:TIDIG_COMP_CNT: 0
	.section	.text._ZN9rocsparseL23gebsrmvn_general_kernelILj512ELj32E21rocsparse_complex_numIfEEEvi20rocsparse_direction_NS_24const_host_device_scalarIT1_EEPKiS8_PKS5_iiSA_S6_PS5_21rocsparse_index_base_b,"axG",@progbits,_ZN9rocsparseL23gebsrmvn_general_kernelILj512ELj32E21rocsparse_complex_numIfEEEvi20rocsparse_direction_NS_24const_host_device_scalarIT1_EEPKiS8_PKS5_iiSA_S6_PS5_21rocsparse_index_base_b,comdat
	.globl	_ZN9rocsparseL23gebsrmvn_general_kernelILj512ELj32E21rocsparse_complex_numIfEEEvi20rocsparse_direction_NS_24const_host_device_scalarIT1_EEPKiS8_PKS5_iiSA_S6_PS5_21rocsparse_index_base_b ; -- Begin function _ZN9rocsparseL23gebsrmvn_general_kernelILj512ELj32E21rocsparse_complex_numIfEEEvi20rocsparse_direction_NS_24const_host_device_scalarIT1_EEPKiS8_PKS5_iiSA_S6_PS5_21rocsparse_index_base_b
	.p2align	8
	.type	_ZN9rocsparseL23gebsrmvn_general_kernelILj512ELj32E21rocsparse_complex_numIfEEEvi20rocsparse_direction_NS_24const_host_device_scalarIT1_EEPKiS8_PKS5_iiSA_S6_PS5_21rocsparse_index_base_b,@function
_ZN9rocsparseL23gebsrmvn_general_kernelILj512ELj32E21rocsparse_complex_numIfEEEvi20rocsparse_direction_NS_24const_host_device_scalarIT1_EEPKiS8_PKS5_iiSA_S6_PS5_21rocsparse_index_base_b: ; @_ZN9rocsparseL23gebsrmvn_general_kernelILj512ELj32E21rocsparse_complex_numIfEEEvi20rocsparse_direction_NS_24const_host_device_scalarIT1_EEPKiS8_PKS5_iiSA_S6_PS5_21rocsparse_index_base_b
; %bb.0:
	s_load_dwordx2 s[0:1], s[4:5], 0x8
	s_load_dwordx2 s[2:3], s[4:5], 0x38
	;; [unrolled: 1-line block ×3, first 2 shown]
	s_add_u32 s7, s4, 8
	s_addc_u32 s8, s5, 0
	s_add_u32 s9, s4, 56
	s_addc_u32 s10, s5, 0
	s_waitcnt lgkmcnt(0)
	s_bitcmp1_b32 s13, 0
	s_cselect_b32 s1, s8, s1
	s_cselect_b32 s0, s7, s0
	v_mov_b32_e32 v1, s0
	v_mov_b32_e32 v2, s1
	flat_load_dwordx2 v[1:2], v[1:2]
	s_cselect_b32 s0, s10, s3
	s_cselect_b32 s1, s9, s2
	v_mov_b32_e32 v3, s1
	v_mov_b32_e32 v4, s0
	flat_load_dwordx2 v[3:4], v[3:4]
	s_waitcnt vmcnt(0) lgkmcnt(0)
	v_cmp_eq_f32_e32 vcc, 0, v1
	v_cmp_eq_f32_e64 s[0:1], 0, v2
	s_and_b64 s[8:9], vcc, s[0:1]
	s_mov_b64 s[0:1], -1
	s_and_saveexec_b64 s[2:3], s[8:9]
; %bb.1:
	v_cmp_neq_f32_e32 vcc, 1.0, v3
	v_cmp_neq_f32_e64 s[0:1], 0, v4
	s_or_b64 s[0:1], vcc, s[0:1]
	s_orn2_b64 s[0:1], s[0:1], exec
; %bb.2:
	s_or_b64 exec, exec, s[2:3]
	s_and_saveexec_b64 s[2:3], s[0:1]
	s_cbranch_execz .LBB77_22
; %bb.3:
	s_load_dwordx2 s[14:15], s[4:5], 0x28
	v_lshrrev_b32_e32 v5, 5, v0
	s_waitcnt lgkmcnt(0)
	v_cmp_gt_i32_e32 vcc, s14, v5
	s_and_b64 exec, exec, vcc
	s_cbranch_execz .LBB77_22
; %bb.4:
	s_load_dwordx4 s[8:11], s[4:5], 0x10
	s_load_dword s20, s[4:5], 0x4
	s_ashr_i32 s7, s6, 31
	s_lshl_b64 s[0:1], s[6:7], 2
	v_cmp_eq_f32_e32 vcc, 0, v3
	s_waitcnt lgkmcnt(0)
	s_add_u32 s0, s8, s0
	s_addc_u32 s1, s9, s1
	s_load_dwordx2 s[2:3], s[0:1], 0x0
	s_load_dwordx2 s[8:9], s[4:5], 0x20
	;; [unrolled: 1-line block ×4, first 2 shown]
	v_cmp_eq_f32_e64 s[4:5], 0, v4
	s_waitcnt lgkmcnt(0)
	s_sub_i32 s13, s2, s12
	s_sub_i32 s33, s3, s12
	s_cmp_lt_i32 s2, s3
	s_cselect_b64 s[24:25], -1, 0
	s_cmp_lg_u32 s20, 0
	s_cselect_b64 s[20:21], -1, 0
	s_and_b64 s[22:23], vcc, s[4:5]
	s_mul_i32 s4, s14, s13
	v_add_u32_e32 v6, s4, v5
	v_mul_lo_u32 v10, s15, v6
	v_and_b32_e32 v0, 31, v0
	v_cndmask_b32_e64 v6, 0, 1, s[24:25]
	v_cmp_gt_i32_e64 s[0:1], s15, v0
	v_cmp_eq_u32_e64 s[2:3], 31, v0
	s_mul_i32 s34, s14, s6
	s_lshl_b32 s35, s15, 4
	s_mul_i32 s36, s15, s14
	s_mov_b64 s[6:7], 0
	v_cmp_ne_u32_e64 s[4:5], 1, v6
	s_branch .LBB77_6
.LBB77_5:                               ;   in Loop: Header=BB77_6 Depth=1
	s_or_b64 exec, exec, s[24:25]
	v_add_u32_e32 v5, 16, v5
	v_cmp_le_i32_e32 vcc, s14, v5
	s_or_b64 s[6:7], vcc, s[6:7]
	v_add_u32_e32 v10, s35, v10
	s_andn2_b64 exec, exec, s[6:7]
	s_cbranch_execz .LBB77_22
.LBB77_6:                               ; =>This Loop Header: Depth=1
                                        ;     Child Loop BB77_10 Depth 2
                                        ;       Child Loop BB77_13 Depth 3
	v_mov_b32_e32 v8, 0
	s_and_b64 vcc, exec, s[4:5]
	v_mov_b32_e32 v9, 0
	s_cbranch_vccnz .LBB77_17
; %bb.7:                                ;   in Loop: Header=BB77_6 Depth=1
	v_mov_b32_e32 v8, 0
	v_mov_b32_e32 v11, v10
	s_mov_b32 s24, s13
	v_mov_b32_e32 v9, 0
	s_branch .LBB77_10
.LBB77_8:                               ;   in Loop: Header=BB77_10 Depth=2
	s_or_b64 exec, exec, s[28:29]
.LBB77_9:                               ;   in Loop: Header=BB77_10 Depth=2
	s_or_b64 exec, exec, s[26:27]
	s_add_i32 s24, s24, 1
	s_cmp_ge_i32 s24, s33
	v_add_u32_e32 v11, s36, v11
	s_cbranch_scc1 .LBB77_17
.LBB77_10:                              ;   Parent Loop BB77_6 Depth=1
                                        ; =>  This Loop Header: Depth=2
                                        ;       Child Loop BB77_13 Depth 3
	s_and_saveexec_b64 s[26:27], s[0:1]
	s_cbranch_execz .LBB77_9
; %bb.11:                               ;   in Loop: Header=BB77_10 Depth=2
	s_ashr_i32 s25, s24, 31
	s_lshl_b64 s[28:29], s[24:25], 2
	s_add_u32 s28, s10, s28
	s_addc_u32 s29, s11, s29
	s_load_dword s30, s[28:29], 0x0
	s_mul_i32 s25, s24, s15
	s_mov_b64 s[28:29], 0
	v_mov_b32_e32 v12, v0
	s_waitcnt lgkmcnt(0)
	s_sub_i32 s37, s30, s12
	s_mul_i32 s37, s37, s15
	s_branch .LBB77_13
.LBB77_12:                              ;   in Loop: Header=BB77_13 Depth=3
	v_ashrrev_i32_e32 v7, 31, v6
	v_lshlrev_b64 v[6:7], 3, v[6:7]
	v_mov_b32_e32 v13, s9
	v_add_co_u32_e32 v6, vcc, s8, v6
	v_addc_co_u32_e32 v7, vcc, v13, v7, vcc
	v_add_u32_e32 v13, s37, v12
	v_ashrrev_i32_e32 v14, 31, v13
	v_lshlrev_b64 v[13:14], 3, v[13:14]
	v_mov_b32_e32 v15, s17
	v_add_co_u32_e32 v13, vcc, s16, v13
	v_addc_co_u32_e32 v14, vcc, v15, v14, vcc
	global_load_dwordx2 v[6:7], v[6:7], off
	v_add_u32_e32 v12, 32, v12
	global_load_dwordx2 v[13:14], v[13:14], off
	v_cmp_le_i32_e32 vcc, s15, v12
	s_or_b64 s[28:29], vcc, s[28:29]
	s_waitcnt vmcnt(0)
	v_fmac_f32_e32 v9, v6, v13
	v_fmac_f32_e32 v8, v7, v13
	v_fma_f32 v9, -v7, v14, v9
	v_fmac_f32_e32 v8, v6, v14
	s_andn2_b64 exec, exec, s[28:29]
	s_cbranch_execz .LBB77_8
.LBB77_13:                              ;   Parent Loop BB77_6 Depth=1
                                        ;     Parent Loop BB77_10 Depth=2
                                        ; =>    This Inner Loop Header: Depth=3
	s_and_b64 vcc, exec, s[20:21]
	s_cbranch_vccz .LBB77_15
; %bb.14:                               ;   in Loop: Header=BB77_13 Depth=3
	v_add_u32_e32 v6, s25, v12
	v_mad_u64_u32 v[6:7], s[30:31], v6, s14, v[5:6]
	s_cbranch_execnz .LBB77_12
	s_branch .LBB77_16
.LBB77_15:                              ;   in Loop: Header=BB77_13 Depth=3
                                        ; implicit-def: $vgpr6
.LBB77_16:                              ;   in Loop: Header=BB77_13 Depth=3
	v_add_u32_e32 v6, v11, v12
	s_branch .LBB77_12
.LBB77_17:                              ;   in Loop: Header=BB77_6 Depth=1
	s_nop 0
	v_mov_b32_dpp v6, v9 row_shr:1 row_mask:0xf bank_mask:0xf
	v_add_f32_e32 v6, v9, v6
	v_mov_b32_dpp v9, v8 row_shr:1 row_mask:0xf bank_mask:0xf
	v_add_f32_e32 v8, v8, v9
	;; [unrolled: 2-line block ×8, first 2 shown]
	v_mov_b32_dpp v7, v6 row_bcast:15 row_mask:0xa bank_mask:0xf
	s_nop 0
	v_mov_b32_dpp v9, v8 row_bcast:15 row_mask:0xa bank_mask:0xf
	s_and_saveexec_b64 s[24:25], s[2:3]
	s_cbranch_execz .LBB77_5
; %bb.18:                               ;   in Loop: Header=BB77_6 Depth=1
	v_add_f32_e32 v11, v6, v7
	v_add_f32_e32 v7, v8, v9
	v_mul_f32_e64 v6, v7, -v2
	v_mul_f32_e32 v7, v1, v7
	v_add_u32_e32 v8, s34, v5
	v_fmac_f32_e32 v6, v1, v11
	v_fmac_f32_e32 v7, v2, v11
	v_ashrrev_i32_e32 v9, 31, v8
	s_and_saveexec_b64 s[26:27], s[22:23]
	s_xor_b64 s[26:27], exec, s[26:27]
	s_cbranch_execz .LBB77_20
; %bb.19:                               ;   in Loop: Header=BB77_6 Depth=1
	v_lshlrev_b64 v[8:9], 3, v[8:9]
	v_mov_b32_e32 v11, s19
	v_add_co_u32_e32 v8, vcc, s18, v8
	v_addc_co_u32_e32 v9, vcc, v11, v9, vcc
	global_store_dwordx2 v[8:9], v[6:7], off
                                        ; implicit-def: $vgpr8
                                        ; implicit-def: $vgpr6
.LBB77_20:                              ;   in Loop: Header=BB77_6 Depth=1
	s_andn2_saveexec_b64 s[26:27], s[26:27]
	s_cbranch_execz .LBB77_5
; %bb.21:                               ;   in Loop: Header=BB77_6 Depth=1
	v_lshlrev_b64 v[8:9], 3, v[8:9]
	v_mov_b32_e32 v11, s19
	v_add_co_u32_e32 v8, vcc, s18, v8
	v_addc_co_u32_e32 v9, vcc, v11, v9, vcc
	global_load_dwordx2 v[11:12], v[8:9], off
	s_waitcnt vmcnt(0)
	v_fmac_f32_e32 v6, v3, v11
	v_fmac_f32_e32 v7, v4, v11
	v_fma_f32 v6, -v4, v12, v6
	v_fmac_f32_e32 v7, v3, v12
	global_store_dwordx2 v[8:9], v[6:7], off
	s_branch .LBB77_5
.LBB77_22:
	s_endpgm
	.section	.rodata,"a",@progbits
	.p2align	6, 0x0
	.amdhsa_kernel _ZN9rocsparseL23gebsrmvn_general_kernelILj512ELj32E21rocsparse_complex_numIfEEEvi20rocsparse_direction_NS_24const_host_device_scalarIT1_EEPKiS8_PKS5_iiSA_S6_PS5_21rocsparse_index_base_b
		.amdhsa_group_segment_fixed_size 0
		.amdhsa_private_segment_fixed_size 0
		.amdhsa_kernarg_size 80
		.amdhsa_user_sgpr_count 6
		.amdhsa_user_sgpr_private_segment_buffer 1
		.amdhsa_user_sgpr_dispatch_ptr 0
		.amdhsa_user_sgpr_queue_ptr 0
		.amdhsa_user_sgpr_kernarg_segment_ptr 1
		.amdhsa_user_sgpr_dispatch_id 0
		.amdhsa_user_sgpr_flat_scratch_init 0
		.amdhsa_user_sgpr_private_segment_size 0
		.amdhsa_uses_dynamic_stack 0
		.amdhsa_system_sgpr_private_segment_wavefront_offset 0
		.amdhsa_system_sgpr_workgroup_id_x 1
		.amdhsa_system_sgpr_workgroup_id_y 0
		.amdhsa_system_sgpr_workgroup_id_z 0
		.amdhsa_system_sgpr_workgroup_info 0
		.amdhsa_system_vgpr_workitem_id 0
		.amdhsa_next_free_vgpr 16
		.amdhsa_next_free_sgpr 38
		.amdhsa_reserve_vcc 1
		.amdhsa_reserve_flat_scratch 0
		.amdhsa_float_round_mode_32 0
		.amdhsa_float_round_mode_16_64 0
		.amdhsa_float_denorm_mode_32 3
		.amdhsa_float_denorm_mode_16_64 3
		.amdhsa_dx10_clamp 1
		.amdhsa_ieee_mode 1
		.amdhsa_fp16_overflow 0
		.amdhsa_exception_fp_ieee_invalid_op 0
		.amdhsa_exception_fp_denorm_src 0
		.amdhsa_exception_fp_ieee_div_zero 0
		.amdhsa_exception_fp_ieee_overflow 0
		.amdhsa_exception_fp_ieee_underflow 0
		.amdhsa_exception_fp_ieee_inexact 0
		.amdhsa_exception_int_div_zero 0
	.end_amdhsa_kernel
	.section	.text._ZN9rocsparseL23gebsrmvn_general_kernelILj512ELj32E21rocsparse_complex_numIfEEEvi20rocsparse_direction_NS_24const_host_device_scalarIT1_EEPKiS8_PKS5_iiSA_S6_PS5_21rocsparse_index_base_b,"axG",@progbits,_ZN9rocsparseL23gebsrmvn_general_kernelILj512ELj32E21rocsparse_complex_numIfEEEvi20rocsparse_direction_NS_24const_host_device_scalarIT1_EEPKiS8_PKS5_iiSA_S6_PS5_21rocsparse_index_base_b,comdat
.Lfunc_end77:
	.size	_ZN9rocsparseL23gebsrmvn_general_kernelILj512ELj32E21rocsparse_complex_numIfEEEvi20rocsparse_direction_NS_24const_host_device_scalarIT1_EEPKiS8_PKS5_iiSA_S6_PS5_21rocsparse_index_base_b, .Lfunc_end77-_ZN9rocsparseL23gebsrmvn_general_kernelILj512ELj32E21rocsparse_complex_numIfEEEvi20rocsparse_direction_NS_24const_host_device_scalarIT1_EEPKiS8_PKS5_iiSA_S6_PS5_21rocsparse_index_base_b
                                        ; -- End function
	.set _ZN9rocsparseL23gebsrmvn_general_kernelILj512ELj32E21rocsparse_complex_numIfEEEvi20rocsparse_direction_NS_24const_host_device_scalarIT1_EEPKiS8_PKS5_iiSA_S6_PS5_21rocsparse_index_base_b.num_vgpr, 16
	.set _ZN9rocsparseL23gebsrmvn_general_kernelILj512ELj32E21rocsparse_complex_numIfEEEvi20rocsparse_direction_NS_24const_host_device_scalarIT1_EEPKiS8_PKS5_iiSA_S6_PS5_21rocsparse_index_base_b.num_agpr, 0
	.set _ZN9rocsparseL23gebsrmvn_general_kernelILj512ELj32E21rocsparse_complex_numIfEEEvi20rocsparse_direction_NS_24const_host_device_scalarIT1_EEPKiS8_PKS5_iiSA_S6_PS5_21rocsparse_index_base_b.numbered_sgpr, 38
	.set _ZN9rocsparseL23gebsrmvn_general_kernelILj512ELj32E21rocsparse_complex_numIfEEEvi20rocsparse_direction_NS_24const_host_device_scalarIT1_EEPKiS8_PKS5_iiSA_S6_PS5_21rocsparse_index_base_b.num_named_barrier, 0
	.set _ZN9rocsparseL23gebsrmvn_general_kernelILj512ELj32E21rocsparse_complex_numIfEEEvi20rocsparse_direction_NS_24const_host_device_scalarIT1_EEPKiS8_PKS5_iiSA_S6_PS5_21rocsparse_index_base_b.private_seg_size, 0
	.set _ZN9rocsparseL23gebsrmvn_general_kernelILj512ELj32E21rocsparse_complex_numIfEEEvi20rocsparse_direction_NS_24const_host_device_scalarIT1_EEPKiS8_PKS5_iiSA_S6_PS5_21rocsparse_index_base_b.uses_vcc, 1
	.set _ZN9rocsparseL23gebsrmvn_general_kernelILj512ELj32E21rocsparse_complex_numIfEEEvi20rocsparse_direction_NS_24const_host_device_scalarIT1_EEPKiS8_PKS5_iiSA_S6_PS5_21rocsparse_index_base_b.uses_flat_scratch, 0
	.set _ZN9rocsparseL23gebsrmvn_general_kernelILj512ELj32E21rocsparse_complex_numIfEEEvi20rocsparse_direction_NS_24const_host_device_scalarIT1_EEPKiS8_PKS5_iiSA_S6_PS5_21rocsparse_index_base_b.has_dyn_sized_stack, 0
	.set _ZN9rocsparseL23gebsrmvn_general_kernelILj512ELj32E21rocsparse_complex_numIfEEEvi20rocsparse_direction_NS_24const_host_device_scalarIT1_EEPKiS8_PKS5_iiSA_S6_PS5_21rocsparse_index_base_b.has_recursion, 0
	.set _ZN9rocsparseL23gebsrmvn_general_kernelILj512ELj32E21rocsparse_complex_numIfEEEvi20rocsparse_direction_NS_24const_host_device_scalarIT1_EEPKiS8_PKS5_iiSA_S6_PS5_21rocsparse_index_base_b.has_indirect_call, 0
	.section	.AMDGPU.csdata,"",@progbits
; Kernel info:
; codeLenInByte = 944
; TotalNumSgprs: 42
; NumVgprs: 16
; ScratchSize: 0
; MemoryBound: 0
; FloatMode: 240
; IeeeMode: 1
; LDSByteSize: 0 bytes/workgroup (compile time only)
; SGPRBlocks: 5
; VGPRBlocks: 3
; NumSGPRsForWavesPerEU: 42
; NumVGPRsForWavesPerEU: 16
; Occupancy: 10
; WaveLimiterHint : 1
; COMPUTE_PGM_RSRC2:SCRATCH_EN: 0
; COMPUTE_PGM_RSRC2:USER_SGPR: 6
; COMPUTE_PGM_RSRC2:TRAP_HANDLER: 0
; COMPUTE_PGM_RSRC2:TGID_X_EN: 1
; COMPUTE_PGM_RSRC2:TGID_Y_EN: 0
; COMPUTE_PGM_RSRC2:TGID_Z_EN: 0
; COMPUTE_PGM_RSRC2:TIDIG_COMP_CNT: 0
	.section	.text._ZN9rocsparseL22gebsrmvn_mxn_16_kernelILj60ELj10ELj1E21rocsparse_complex_numIfEEEvi20rocsparse_direction_NS_24const_host_device_scalarIT2_EEPKiS8_PKS5_iiSA_S6_PS5_21rocsparse_index_base_b,"axG",@progbits,_ZN9rocsparseL22gebsrmvn_mxn_16_kernelILj60ELj10ELj1E21rocsparse_complex_numIfEEEvi20rocsparse_direction_NS_24const_host_device_scalarIT2_EEPKiS8_PKS5_iiSA_S6_PS5_21rocsparse_index_base_b,comdat
	.globl	_ZN9rocsparseL22gebsrmvn_mxn_16_kernelILj60ELj10ELj1E21rocsparse_complex_numIfEEEvi20rocsparse_direction_NS_24const_host_device_scalarIT2_EEPKiS8_PKS5_iiSA_S6_PS5_21rocsparse_index_base_b ; -- Begin function _ZN9rocsparseL22gebsrmvn_mxn_16_kernelILj60ELj10ELj1E21rocsparse_complex_numIfEEEvi20rocsparse_direction_NS_24const_host_device_scalarIT2_EEPKiS8_PKS5_iiSA_S6_PS5_21rocsparse_index_base_b
	.p2align	8
	.type	_ZN9rocsparseL22gebsrmvn_mxn_16_kernelILj60ELj10ELj1E21rocsparse_complex_numIfEEEvi20rocsparse_direction_NS_24const_host_device_scalarIT2_EEPKiS8_PKS5_iiSA_S6_PS5_21rocsparse_index_base_b,@function
_ZN9rocsparseL22gebsrmvn_mxn_16_kernelILj60ELj10ELj1E21rocsparse_complex_numIfEEEvi20rocsparse_direction_NS_24const_host_device_scalarIT2_EEPKiS8_PKS5_iiSA_S6_PS5_21rocsparse_index_base_b: ; @_ZN9rocsparseL22gebsrmvn_mxn_16_kernelILj60ELj10ELj1E21rocsparse_complex_numIfEEEvi20rocsparse_direction_NS_24const_host_device_scalarIT2_EEPKiS8_PKS5_iiSA_S6_PS5_21rocsparse_index_base_b
; %bb.0:
	s_load_dwordx2 s[0:1], s[4:5], 0x8
	s_load_dwordx2 s[2:3], s[4:5], 0x38
	;; [unrolled: 1-line block ×3, first 2 shown]
	s_add_u32 s7, s4, 8
	s_addc_u32 s8, s5, 0
	s_add_u32 s9, s4, 56
	s_addc_u32 s12, s5, 0
	s_waitcnt lgkmcnt(0)
	s_bitcmp1_b32 s11, 0
	s_cselect_b32 s1, s8, s1
	s_cselect_b32 s0, s7, s0
	v_mov_b32_e32 v1, s0
	v_mov_b32_e32 v2, s1
	flat_load_dwordx2 v[3:4], v[1:2]
	s_cselect_b32 s0, s12, s3
	s_cselect_b32 s1, s9, s2
	v_mov_b32_e32 v1, s1
	v_mov_b32_e32 v2, s0
	flat_load_dwordx2 v[1:2], v[1:2]
	s_waitcnt vmcnt(0) lgkmcnt(0)
	v_cmp_eq_f32_e32 vcc, 0, v3
	v_cmp_eq_f32_e64 s[0:1], 0, v4
	s_and_b64 s[8:9], vcc, s[0:1]
	s_mov_b64 s[0:1], -1
	s_and_saveexec_b64 s[2:3], s[8:9]
; %bb.1:
	v_cmp_neq_f32_e32 vcc, 1.0, v1
	v_cmp_neq_f32_e64 s[0:1], 0, v2
	s_or_b64 s[0:1], vcc, s[0:1]
	s_orn2_b64 s[0:1], s[0:1], exec
; %bb.2:
	s_or_b64 exec, exec, s[2:3]
	s_and_saveexec_b64 s[2:3], s[0:1]
	s_cbranch_execz .LBB78_22
; %bb.3:
	s_load_dwordx2 s[0:1], s[4:5], 0x10
	s_ashr_i32 s7, s6, 31
	s_lshl_b64 s[2:3], s[6:7], 2
	s_waitcnt lgkmcnt(0)
	s_add_u32 s0, s0, s2
	s_addc_u32 s1, s1, s3
	s_load_dwordx2 s[14:15], s[0:1], 0x0
	s_waitcnt lgkmcnt(0)
	s_cmp_lt_i32 s14, s15
	s_cbranch_scc1 .LBB78_5
; %bb.4:
	s_mov_b64 s[0:1], 0
	s_branch .LBB78_6
.LBB78_5:
	s_mov_b64 s[0:1], -1
.LBB78_6:
	s_load_dwordx2 s[8:9], s[4:5], 0x40
	v_mov_b32_e32 v6, 0
	s_andn2_b64 vcc, exec, s[0:1]
	v_mov_b32_e32 v5, 0
	s_cbranch_vccnz .LBB78_11
; %bb.7:
	s_load_dwordx4 s[0:3], s[4:5], 0x18
	s_load_dwordx2 s[12:13], s[4:5], 0x30
	v_mad_u64_u32 v[5:6], s[4:5], s14, 10, v[0:1]
	s_mul_i32 s4, s10, 10
	v_mov_b32_e32 v8, 0
	s_sub_i32 s7, s15, s10
	s_sub_i32 s11, s14, s10
	v_mul_u32_u24_e32 v11, 0x199a, v0
	v_subrev_u32_e32 v7, s4, v5
	v_mov_b32_e32 v6, v8
	v_mov_b32_e32 v5, v8
	s_branch .LBB78_9
.LBB78_8:                               ;   in Loop: Header=BB78_9 Depth=1
	s_or_b64 exec, exec, s[4:5]
	s_add_i32 s11, s11, 6
	s_cmp_ge_i32 s11, s7
	v_add_u32_e32 v7, 60, v7
	s_cbranch_scc1 .LBB78_11
.LBB78_9:                               ; =>This Inner Loop Header: Depth=1
	v_add_u32_sdwa v9, v11, s11 dst_sel:DWORD dst_unused:UNUSED_PAD src0_sel:WORD_1 src1_sel:DWORD
	v_cmp_gt_i32_e32 vcc, s7, v9
	s_and_saveexec_b64 s[4:5], vcc
	s_cbranch_execz .LBB78_8
; %bb.10:                               ;   in Loop: Header=BB78_9 Depth=1
	v_ashrrev_i32_e32 v10, 31, v9
	v_lshlrev_b64 v[9:10], 2, v[9:10]
	s_waitcnt lgkmcnt(0)
	v_mov_b32_e32 v12, s1
	v_add_co_u32_e32 v9, vcc, s0, v9
	v_addc_co_u32_e32 v10, vcc, v12, v10, vcc
	global_load_dword v12, v[9:10], off
	v_lshlrev_b64 v[9:10], 3, v[7:8]
	v_mov_b32_e32 v13, s3
	v_add_co_u32_e32 v9, vcc, s2, v9
	v_addc_co_u32_e32 v10, vcc, v13, v10, vcc
	v_mov_b32_e32 v14, s13
	global_load_dwordx2 v[9:10], v[9:10], off
	s_waitcnt vmcnt(1)
	v_subrev_u32_e32 v12, s10, v12
	v_ashrrev_i32_e32 v13, 31, v12
	v_lshlrev_b64 v[12:13], 3, v[12:13]
	v_add_co_u32_e32 v12, vcc, s12, v12
	v_addc_co_u32_e32 v13, vcc, v14, v13, vcc
	global_load_dwordx2 v[12:13], v[12:13], off
	s_waitcnt vmcnt(0)
	v_fmac_f32_e32 v5, v9, v12
	v_fmac_f32_e32 v6, v10, v12
	v_fma_f32 v5, -v10, v13, v5
	v_fmac_f32_e32 v6, v9, v13
	s_branch .LBB78_8
.LBB78_11:
	v_lshlrev_b32_e32 v7, 3, v0
	v_cmp_gt_u32_e32 vcc, 20, v0
	ds_write_b64 v7, v[5:6]
	s_waitcnt lgkmcnt(0)
	; wave barrier
	s_and_saveexec_b64 s[0:1], vcc
	s_cbranch_execz .LBB78_13
; %bb.12:
	ds_read2_b64 v[8:11], v7 offset1:40
	s_waitcnt lgkmcnt(0)
	v_add_f32_e32 v5, v10, v8
	v_add_f32_e32 v6, v11, v9
	ds_write_b64 v7, v[5:6]
.LBB78_13:
	s_or_b64 exec, exec, s[0:1]
	s_waitcnt lgkmcnt(0)
	; wave barrier
	s_and_saveexec_b64 s[0:1], vcc
	s_cbranch_execz .LBB78_15
; %bb.14:
	ds_read2_b64 v[8:11], v7 offset1:20
	s_waitcnt lgkmcnt(0)
	v_add_f32_e32 v5, v10, v8
	v_add_f32_e32 v6, v11, v9
	ds_write_b64 v7, v[5:6]
.LBB78_15:
	s_or_b64 exec, exec, s[0:1]
	v_cmp_gt_u32_e32 vcc, 10, v0
	s_waitcnt lgkmcnt(0)
	; wave barrier
	s_and_saveexec_b64 s[0:1], vcc
	s_cbranch_execz .LBB78_17
; %bb.16:
	ds_read2_b64 v[8:11], v7 offset1:10
	s_waitcnt lgkmcnt(0)
	v_add_f32_e32 v5, v10, v8
	v_add_f32_e32 v6, v11, v9
	ds_write_b64 v7, v[5:6]
.LBB78_17:
	s_or_b64 exec, exec, s[0:1]
	s_waitcnt lgkmcnt(0)
	; wave barrier
	s_and_b64 exec, exec, vcc
	s_cbranch_execz .LBB78_22
; %bb.18:
	ds_read_b64 v[7:8], v7
	v_cmp_eq_f32_e32 vcc, 0, v1
	v_cmp_eq_f32_e64 s[0:1], 0, v2
	s_and_b64 s[0:1], vcc, s[0:1]
	s_waitcnt lgkmcnt(0)
	v_mul_f32_e64 v5, v8, -v4
	v_mul_f32_e32 v6, v3, v8
	v_fmac_f32_e32 v5, v3, v7
	v_fmac_f32_e32 v6, v4, v7
	s_and_saveexec_b64 s[2:3], s[0:1]
	s_xor_b64 s[0:1], exec, s[2:3]
	s_cbranch_execz .LBB78_20
; %bb.19:
	v_mad_u64_u32 v[0:1], s[2:3], s6, 10, v[0:1]
	v_mov_b32_e32 v1, 0
	v_mov_b32_e32 v2, s9
	v_lshlrev_b64 v[0:1], 3, v[0:1]
	v_add_co_u32_e32 v0, vcc, s8, v0
	v_addc_co_u32_e32 v1, vcc, v2, v1, vcc
	global_store_dwordx2 v[0:1], v[5:6], off
                                        ; implicit-def: $vgpr0
                                        ; implicit-def: $vgpr1_vgpr2
                                        ; implicit-def: $vgpr5
.LBB78_20:
	s_andn2_saveexec_b64 s[0:1], s[0:1]
	s_cbranch_execz .LBB78_22
; %bb.21:
	v_mad_u64_u32 v[3:4], s[0:1], s6, 10, v[0:1]
	v_mov_b32_e32 v4, 0
	v_mov_b32_e32 v0, s9
	v_lshlrev_b64 v[3:4], 3, v[3:4]
	v_add_co_u32_e32 v3, vcc, s8, v3
	v_addc_co_u32_e32 v4, vcc, v0, v4, vcc
	global_load_dwordx2 v[7:8], v[3:4], off
	s_waitcnt vmcnt(0)
	v_fmac_f32_e32 v5, v1, v7
	v_fmac_f32_e32 v6, v2, v7
	v_fma_f32 v5, -v2, v8, v5
	v_fmac_f32_e32 v6, v1, v8
	global_store_dwordx2 v[3:4], v[5:6], off
.LBB78_22:
	s_endpgm
	.section	.rodata,"a",@progbits
	.p2align	6, 0x0
	.amdhsa_kernel _ZN9rocsparseL22gebsrmvn_mxn_16_kernelILj60ELj10ELj1E21rocsparse_complex_numIfEEEvi20rocsparse_direction_NS_24const_host_device_scalarIT2_EEPKiS8_PKS5_iiSA_S6_PS5_21rocsparse_index_base_b
		.amdhsa_group_segment_fixed_size 480
		.amdhsa_private_segment_fixed_size 0
		.amdhsa_kernarg_size 80
		.amdhsa_user_sgpr_count 6
		.amdhsa_user_sgpr_private_segment_buffer 1
		.amdhsa_user_sgpr_dispatch_ptr 0
		.amdhsa_user_sgpr_queue_ptr 0
		.amdhsa_user_sgpr_kernarg_segment_ptr 1
		.amdhsa_user_sgpr_dispatch_id 0
		.amdhsa_user_sgpr_flat_scratch_init 0
		.amdhsa_user_sgpr_private_segment_size 0
		.amdhsa_uses_dynamic_stack 0
		.amdhsa_system_sgpr_private_segment_wavefront_offset 0
		.amdhsa_system_sgpr_workgroup_id_x 1
		.amdhsa_system_sgpr_workgroup_id_y 0
		.amdhsa_system_sgpr_workgroup_id_z 0
		.amdhsa_system_sgpr_workgroup_info 0
		.amdhsa_system_vgpr_workitem_id 0
		.amdhsa_next_free_vgpr 15
		.amdhsa_next_free_sgpr 16
		.amdhsa_reserve_vcc 1
		.amdhsa_reserve_flat_scratch 0
		.amdhsa_float_round_mode_32 0
		.amdhsa_float_round_mode_16_64 0
		.amdhsa_float_denorm_mode_32 3
		.amdhsa_float_denorm_mode_16_64 3
		.amdhsa_dx10_clamp 1
		.amdhsa_ieee_mode 1
		.amdhsa_fp16_overflow 0
		.amdhsa_exception_fp_ieee_invalid_op 0
		.amdhsa_exception_fp_denorm_src 0
		.amdhsa_exception_fp_ieee_div_zero 0
		.amdhsa_exception_fp_ieee_overflow 0
		.amdhsa_exception_fp_ieee_underflow 0
		.amdhsa_exception_fp_ieee_inexact 0
		.amdhsa_exception_int_div_zero 0
	.end_amdhsa_kernel
	.section	.text._ZN9rocsparseL22gebsrmvn_mxn_16_kernelILj60ELj10ELj1E21rocsparse_complex_numIfEEEvi20rocsparse_direction_NS_24const_host_device_scalarIT2_EEPKiS8_PKS5_iiSA_S6_PS5_21rocsparse_index_base_b,"axG",@progbits,_ZN9rocsparseL22gebsrmvn_mxn_16_kernelILj60ELj10ELj1E21rocsparse_complex_numIfEEEvi20rocsparse_direction_NS_24const_host_device_scalarIT2_EEPKiS8_PKS5_iiSA_S6_PS5_21rocsparse_index_base_b,comdat
.Lfunc_end78:
	.size	_ZN9rocsparseL22gebsrmvn_mxn_16_kernelILj60ELj10ELj1E21rocsparse_complex_numIfEEEvi20rocsparse_direction_NS_24const_host_device_scalarIT2_EEPKiS8_PKS5_iiSA_S6_PS5_21rocsparse_index_base_b, .Lfunc_end78-_ZN9rocsparseL22gebsrmvn_mxn_16_kernelILj60ELj10ELj1E21rocsparse_complex_numIfEEEvi20rocsparse_direction_NS_24const_host_device_scalarIT2_EEPKiS8_PKS5_iiSA_S6_PS5_21rocsparse_index_base_b
                                        ; -- End function
	.set _ZN9rocsparseL22gebsrmvn_mxn_16_kernelILj60ELj10ELj1E21rocsparse_complex_numIfEEEvi20rocsparse_direction_NS_24const_host_device_scalarIT2_EEPKiS8_PKS5_iiSA_S6_PS5_21rocsparse_index_base_b.num_vgpr, 15
	.set _ZN9rocsparseL22gebsrmvn_mxn_16_kernelILj60ELj10ELj1E21rocsparse_complex_numIfEEEvi20rocsparse_direction_NS_24const_host_device_scalarIT2_EEPKiS8_PKS5_iiSA_S6_PS5_21rocsparse_index_base_b.num_agpr, 0
	.set _ZN9rocsparseL22gebsrmvn_mxn_16_kernelILj60ELj10ELj1E21rocsparse_complex_numIfEEEvi20rocsparse_direction_NS_24const_host_device_scalarIT2_EEPKiS8_PKS5_iiSA_S6_PS5_21rocsparse_index_base_b.numbered_sgpr, 16
	.set _ZN9rocsparseL22gebsrmvn_mxn_16_kernelILj60ELj10ELj1E21rocsparse_complex_numIfEEEvi20rocsparse_direction_NS_24const_host_device_scalarIT2_EEPKiS8_PKS5_iiSA_S6_PS5_21rocsparse_index_base_b.num_named_barrier, 0
	.set _ZN9rocsparseL22gebsrmvn_mxn_16_kernelILj60ELj10ELj1E21rocsparse_complex_numIfEEEvi20rocsparse_direction_NS_24const_host_device_scalarIT2_EEPKiS8_PKS5_iiSA_S6_PS5_21rocsparse_index_base_b.private_seg_size, 0
	.set _ZN9rocsparseL22gebsrmvn_mxn_16_kernelILj60ELj10ELj1E21rocsparse_complex_numIfEEEvi20rocsparse_direction_NS_24const_host_device_scalarIT2_EEPKiS8_PKS5_iiSA_S6_PS5_21rocsparse_index_base_b.uses_vcc, 1
	.set _ZN9rocsparseL22gebsrmvn_mxn_16_kernelILj60ELj10ELj1E21rocsparse_complex_numIfEEEvi20rocsparse_direction_NS_24const_host_device_scalarIT2_EEPKiS8_PKS5_iiSA_S6_PS5_21rocsparse_index_base_b.uses_flat_scratch, 0
	.set _ZN9rocsparseL22gebsrmvn_mxn_16_kernelILj60ELj10ELj1E21rocsparse_complex_numIfEEEvi20rocsparse_direction_NS_24const_host_device_scalarIT2_EEPKiS8_PKS5_iiSA_S6_PS5_21rocsparse_index_base_b.has_dyn_sized_stack, 0
	.set _ZN9rocsparseL22gebsrmvn_mxn_16_kernelILj60ELj10ELj1E21rocsparse_complex_numIfEEEvi20rocsparse_direction_NS_24const_host_device_scalarIT2_EEPKiS8_PKS5_iiSA_S6_PS5_21rocsparse_index_base_b.has_recursion, 0
	.set _ZN9rocsparseL22gebsrmvn_mxn_16_kernelILj60ELj10ELj1E21rocsparse_complex_numIfEEEvi20rocsparse_direction_NS_24const_host_device_scalarIT2_EEPKiS8_PKS5_iiSA_S6_PS5_21rocsparse_index_base_b.has_indirect_call, 0
	.section	.AMDGPU.csdata,"",@progbits
; Kernel info:
; codeLenInByte = 824
; TotalNumSgprs: 20
; NumVgprs: 15
; ScratchSize: 0
; MemoryBound: 0
; FloatMode: 240
; IeeeMode: 1
; LDSByteSize: 480 bytes/workgroup (compile time only)
; SGPRBlocks: 2
; VGPRBlocks: 3
; NumSGPRsForWavesPerEU: 20
; NumVGPRsForWavesPerEU: 15
; Occupancy: 10
; WaveLimiterHint : 1
; COMPUTE_PGM_RSRC2:SCRATCH_EN: 0
; COMPUTE_PGM_RSRC2:USER_SGPR: 6
; COMPUTE_PGM_RSRC2:TRAP_HANDLER: 0
; COMPUTE_PGM_RSRC2:TGID_X_EN: 1
; COMPUTE_PGM_RSRC2:TGID_Y_EN: 0
; COMPUTE_PGM_RSRC2:TGID_Z_EN: 0
; COMPUTE_PGM_RSRC2:TIDIG_COMP_CNT: 0
	.section	.text._ZN9rocsparseL22gebsrmvn_mxn_16_kernelILj60ELj10ELj2E21rocsparse_complex_numIfEEEvi20rocsparse_direction_NS_24const_host_device_scalarIT2_EEPKiS8_PKS5_iiSA_S6_PS5_21rocsparse_index_base_b,"axG",@progbits,_ZN9rocsparseL22gebsrmvn_mxn_16_kernelILj60ELj10ELj2E21rocsparse_complex_numIfEEEvi20rocsparse_direction_NS_24const_host_device_scalarIT2_EEPKiS8_PKS5_iiSA_S6_PS5_21rocsparse_index_base_b,comdat
	.globl	_ZN9rocsparseL22gebsrmvn_mxn_16_kernelILj60ELj10ELj2E21rocsparse_complex_numIfEEEvi20rocsparse_direction_NS_24const_host_device_scalarIT2_EEPKiS8_PKS5_iiSA_S6_PS5_21rocsparse_index_base_b ; -- Begin function _ZN9rocsparseL22gebsrmvn_mxn_16_kernelILj60ELj10ELj2E21rocsparse_complex_numIfEEEvi20rocsparse_direction_NS_24const_host_device_scalarIT2_EEPKiS8_PKS5_iiSA_S6_PS5_21rocsparse_index_base_b
	.p2align	8
	.type	_ZN9rocsparseL22gebsrmvn_mxn_16_kernelILj60ELj10ELj2E21rocsparse_complex_numIfEEEvi20rocsparse_direction_NS_24const_host_device_scalarIT2_EEPKiS8_PKS5_iiSA_S6_PS5_21rocsparse_index_base_b,@function
_ZN9rocsparseL22gebsrmvn_mxn_16_kernelILj60ELj10ELj2E21rocsparse_complex_numIfEEEvi20rocsparse_direction_NS_24const_host_device_scalarIT2_EEPKiS8_PKS5_iiSA_S6_PS5_21rocsparse_index_base_b: ; @_ZN9rocsparseL22gebsrmvn_mxn_16_kernelILj60ELj10ELj2E21rocsparse_complex_numIfEEEvi20rocsparse_direction_NS_24const_host_device_scalarIT2_EEPKiS8_PKS5_iiSA_S6_PS5_21rocsparse_index_base_b
; %bb.0:
	s_load_dwordx2 s[0:1], s[4:5], 0x8
	s_load_dwordx2 s[2:3], s[4:5], 0x38
	;; [unrolled: 1-line block ×3, first 2 shown]
	s_add_u32 s7, s4, 8
	s_addc_u32 s8, s5, 0
	s_add_u32 s9, s4, 56
	s_addc_u32 s10, s5, 0
	s_waitcnt lgkmcnt(0)
	s_bitcmp1_b32 s13, 0
	s_cselect_b32 s1, s8, s1
	s_cselect_b32 s0, s7, s0
	v_mov_b32_e32 v1, s0
	v_mov_b32_e32 v2, s1
	flat_load_dwordx2 v[3:4], v[1:2]
	s_cselect_b32 s0, s10, s3
	s_cselect_b32 s1, s9, s2
	v_mov_b32_e32 v1, s1
	v_mov_b32_e32 v2, s0
	flat_load_dwordx2 v[1:2], v[1:2]
	s_waitcnt vmcnt(0) lgkmcnt(0)
	v_cmp_eq_f32_e32 vcc, 0, v3
	v_cmp_eq_f32_e64 s[0:1], 0, v4
	s_and_b64 s[8:9], vcc, s[0:1]
	s_mov_b64 s[0:1], -1
	s_and_saveexec_b64 s[2:3], s[8:9]
; %bb.1:
	v_cmp_neq_f32_e32 vcc, 1.0, v1
	v_cmp_neq_f32_e64 s[0:1], 0, v2
	s_or_b64 s[0:1], vcc, s[0:1]
	s_orn2_b64 s[0:1], s[0:1], exec
; %bb.2:
	s_or_b64 exec, exec, s[2:3]
	s_and_saveexec_b64 s[2:3], s[0:1]
	s_cbranch_execz .LBB79_31
; %bb.3:
	s_load_dword s2, s[4:5], 0x4
	s_load_dwordx2 s[0:1], s[4:5], 0x10
	v_and_b32_e32 v11, 1, v0
	v_mov_b32_e32 v12, v11
	s_waitcnt lgkmcnt(0)
	s_cmp_lg_u32 s2, 1
	s_cselect_b64 s[10:11], -1, 0
	s_and_b64 vcc, exec, s[10:11]
	s_cbranch_vccnz .LBB79_5
; %bb.4:
	v_mul_u32_u24_e32 v5, 0x199a, v0
	v_bfe_u32 v12, v5, 16, 1
.LBB79_5:
	s_ashr_i32 s7, s6, 31
	s_lshl_b64 s[2:3], s[6:7], 2
	s_add_u32 s0, s0, s2
	s_addc_u32 s1, s1, s3
	s_load_dwordx2 s[16:17], s[0:1], 0x0
	s_load_dwordx2 s[8:9], s[4:5], 0x40
	v_mov_b32_e32 v6, 0
	v_mov_b32_e32 v5, 0
	s_waitcnt lgkmcnt(0)
	s_cmp_ge_i32 s16, s17
	s_cbranch_scc1 .LBB79_10
; %bb.6:
	s_load_dwordx4 s[0:3], s[4:5], 0x18
	s_load_dwordx2 s[14:15], s[4:5], 0x30
	v_mad_u64_u32 v[5:6], s[4:5], s16, 20, v[0:1]
	s_mul_i32 s4, s12, 20
	v_mov_b32_e32 v8, 0
	s_sub_i32 s7, s17, s12
	s_sub_i32 s13, s16, s12
	v_mul_u32_u24_e32 v13, 0xccd, v0
	v_subrev_u32_e32 v7, s4, v5
	v_mov_b32_e32 v6, v8
	v_mov_b32_e32 v5, v8
	s_branch .LBB79_8
.LBB79_7:                               ;   in Loop: Header=BB79_8 Depth=1
	s_or_b64 exec, exec, s[4:5]
	s_add_i32 s13, s13, 3
	s_cmp_ge_i32 s13, s7
	v_add_u32_e32 v7, 60, v7
	s_cbranch_scc1 .LBB79_10
.LBB79_8:                               ; =>This Inner Loop Header: Depth=1
	v_add_u32_sdwa v9, v13, s13 dst_sel:DWORD dst_unused:UNUSED_PAD src0_sel:WORD_1 src1_sel:DWORD
	v_cmp_gt_i32_e32 vcc, s7, v9
	s_and_saveexec_b64 s[4:5], vcc
	s_cbranch_execz .LBB79_7
; %bb.9:                                ;   in Loop: Header=BB79_8 Depth=1
	v_ashrrev_i32_e32 v10, 31, v9
	v_lshlrev_b64 v[9:10], 2, v[9:10]
	s_waitcnt lgkmcnt(0)
	v_mov_b32_e32 v14, s1
	v_add_co_u32_e32 v9, vcc, s0, v9
	v_addc_co_u32_e32 v10, vcc, v14, v10, vcc
	global_load_dword v14, v[9:10], off
	v_lshlrev_b64 v[9:10], 3, v[7:8]
	v_mov_b32_e32 v15, s3
	v_add_co_u32_e32 v9, vcc, s2, v9
	v_addc_co_u32_e32 v10, vcc, v15, v10, vcc
	v_mov_b32_e32 v16, s15
	global_load_dwordx2 v[9:10], v[9:10], off
	s_waitcnt vmcnt(1)
	v_subrev_u32_e32 v14, s12, v14
	v_lshl_or_b32 v14, v14, 1, v12
	v_ashrrev_i32_e32 v15, 31, v14
	v_lshlrev_b64 v[14:15], 3, v[14:15]
	v_add_co_u32_e32 v14, vcc, s14, v14
	v_addc_co_u32_e32 v15, vcc, v16, v15, vcc
	global_load_dwordx2 v[14:15], v[14:15], off
	s_waitcnt vmcnt(0)
	v_fmac_f32_e32 v5, v9, v14
	v_fmac_f32_e32 v6, v10, v14
	v_fma_f32 v5, -v10, v15, v5
	v_fmac_f32_e32 v6, v9, v15
	s_branch .LBB79_7
.LBB79_10:
	v_lshlrev_b32_e32 v9, 3, v0
	v_cmp_gt_u32_e32 vcc, 20, v0
	ds_write_b64 v9, v[5:6]
	s_waitcnt lgkmcnt(0)
	; wave barrier
	s_and_saveexec_b64 s[0:1], vcc
	s_cbranch_execz .LBB79_12
; %bb.11:
	ds_read2_b64 v[12:15], v9 offset1:40
	s_waitcnt lgkmcnt(0)
	v_add_f32_e32 v7, v14, v12
	v_add_f32_e32 v8, v15, v13
	ds_write_b64 v9, v[7:8]
.LBB79_12:
	s_or_b64 exec, exec, s[0:1]
	s_waitcnt lgkmcnt(0)
	; wave barrier
	s_and_saveexec_b64 s[0:1], vcc
	s_cbranch_execz .LBB79_14
; %bb.13:
	ds_read2_b64 v[12:15], v9 offset1:20
	s_waitcnt lgkmcnt(0)
	v_add_f32_e32 v7, v14, v12
	v_add_f32_e32 v8, v15, v13
	ds_write_b64 v9, v[7:8]
.LBB79_14:
	s_or_b64 exec, exec, s[0:1]
	s_and_b64 vcc, exec, s[10:11]
	s_waitcnt lgkmcnt(0)
	; wave barrier
	s_cbranch_vccz .LBB79_20
; %bb.15:
	v_cmp_eq_u32_e32 vcc, 0, v11
	s_and_saveexec_b64 s[0:1], vcc
	s_cbranch_execz .LBB79_17
; %bb.16:
	ds_read2_b64 v[10:13], v9 offset1:1
	s_waitcnt lgkmcnt(0)
	v_add_f32_e32 v7, v12, v10
	v_add_f32_e32 v8, v13, v11
	ds_write_b64 v9, v[7:8]
.LBB79_17:
	s_or_b64 exec, exec, s[0:1]
	v_cmp_gt_u32_e32 vcc, 10, v0
	v_mov_b32_e32 v8, v6
	v_mov_b32_e32 v7, v5
	s_waitcnt lgkmcnt(0)
	; wave barrier
	s_and_saveexec_b64 s[0:1], vcc
; %bb.18:
	v_lshl_add_u32 v7, v0, 3, v9
	ds_read_b64 v[7:8], v7
; %bb.19:
	s_or_b64 exec, exec, s[0:1]
	s_branch .LBB79_26
.LBB79_20:
                                        ; implicit-def: $vgpr8
	s_cbranch_execz .LBB79_26
; %bb.21:
	v_cmp_lt_u32_e32 vcc, 9, v0
	s_and_saveexec_b64 s[0:1], vcc
	s_xor_b64 s[0:1], exec, s[0:1]
	s_cbranch_execz .LBB79_23
; %bb.22:
	s_waitcnt lgkmcnt(0)
                                        ; implicit-def: $vgpr9
.LBB79_23:
	s_andn2_saveexec_b64 s[0:1], s[0:1]
	s_cbranch_execz .LBB79_25
; %bb.24:
	s_waitcnt lgkmcnt(0)
	ds_read2_b64 v[5:8], v9 offset1:10
	s_waitcnt lgkmcnt(0)
	v_add_f32_e32 v5, v7, v5
	v_add_f32_e32 v6, v8, v6
	ds_write_b64 v9, v[5:6]
	s_waitcnt lgkmcnt(0)
	ds_read_b64 v[5:6], v9
.LBB79_25:
	s_or_b64 exec, exec, s[0:1]
	s_waitcnt lgkmcnt(0)
	v_mov_b32_e32 v7, v5
	v_mov_b32_e32 v8, v6
.LBB79_26:
	v_cmp_gt_u32_e32 vcc, 10, v0
	s_and_b64 exec, exec, vcc
	s_cbranch_execz .LBB79_31
; %bb.27:
	v_cmp_eq_f32_e32 vcc, 0, v1
	v_cmp_eq_f32_e64 s[0:1], 0, v2
	s_waitcnt lgkmcnt(0)
	v_mul_f32_e64 v5, v8, -v4
	v_mul_f32_e32 v6, v3, v8
	s_and_b64 s[0:1], vcc, s[0:1]
	v_fmac_f32_e32 v5, v3, v7
	v_fmac_f32_e32 v6, v4, v7
	s_and_saveexec_b64 s[2:3], s[0:1]
	s_xor_b64 s[0:1], exec, s[2:3]
	s_cbranch_execz .LBB79_29
; %bb.28:
	v_mad_u64_u32 v[0:1], s[2:3], s6, 10, v[0:1]
	v_mov_b32_e32 v1, 0
	v_mov_b32_e32 v2, s9
	v_lshlrev_b64 v[0:1], 3, v[0:1]
	v_add_co_u32_e32 v0, vcc, s8, v0
	v_addc_co_u32_e32 v1, vcc, v2, v1, vcc
	global_store_dwordx2 v[0:1], v[5:6], off
                                        ; implicit-def: $vgpr0
                                        ; implicit-def: $vgpr1_vgpr2
                                        ; implicit-def: $vgpr5
.LBB79_29:
	s_andn2_saveexec_b64 s[0:1], s[0:1]
	s_cbranch_execz .LBB79_31
; %bb.30:
	v_mad_u64_u32 v[3:4], s[0:1], s6, 10, v[0:1]
	v_mov_b32_e32 v4, 0
	v_mov_b32_e32 v0, s9
	v_lshlrev_b64 v[3:4], 3, v[3:4]
	v_add_co_u32_e32 v3, vcc, s8, v3
	v_addc_co_u32_e32 v4, vcc, v0, v4, vcc
	global_load_dwordx2 v[7:8], v[3:4], off
	s_waitcnt vmcnt(0)
	v_fmac_f32_e32 v5, v1, v7
	v_fmac_f32_e32 v6, v2, v7
	v_fma_f32 v5, -v2, v8, v5
	v_fmac_f32_e32 v6, v1, v8
	global_store_dwordx2 v[3:4], v[5:6], off
.LBB79_31:
	s_endpgm
	.section	.rodata,"a",@progbits
	.p2align	6, 0x0
	.amdhsa_kernel _ZN9rocsparseL22gebsrmvn_mxn_16_kernelILj60ELj10ELj2E21rocsparse_complex_numIfEEEvi20rocsparse_direction_NS_24const_host_device_scalarIT2_EEPKiS8_PKS5_iiSA_S6_PS5_21rocsparse_index_base_b
		.amdhsa_group_segment_fixed_size 480
		.amdhsa_private_segment_fixed_size 0
		.amdhsa_kernarg_size 80
		.amdhsa_user_sgpr_count 6
		.amdhsa_user_sgpr_private_segment_buffer 1
		.amdhsa_user_sgpr_dispatch_ptr 0
		.amdhsa_user_sgpr_queue_ptr 0
		.amdhsa_user_sgpr_kernarg_segment_ptr 1
		.amdhsa_user_sgpr_dispatch_id 0
		.amdhsa_user_sgpr_flat_scratch_init 0
		.amdhsa_user_sgpr_private_segment_size 0
		.amdhsa_uses_dynamic_stack 0
		.amdhsa_system_sgpr_private_segment_wavefront_offset 0
		.amdhsa_system_sgpr_workgroup_id_x 1
		.amdhsa_system_sgpr_workgroup_id_y 0
		.amdhsa_system_sgpr_workgroup_id_z 0
		.amdhsa_system_sgpr_workgroup_info 0
		.amdhsa_system_vgpr_workitem_id 0
		.amdhsa_next_free_vgpr 17
		.amdhsa_next_free_sgpr 18
		.amdhsa_reserve_vcc 1
		.amdhsa_reserve_flat_scratch 0
		.amdhsa_float_round_mode_32 0
		.amdhsa_float_round_mode_16_64 0
		.amdhsa_float_denorm_mode_32 3
		.amdhsa_float_denorm_mode_16_64 3
		.amdhsa_dx10_clamp 1
		.amdhsa_ieee_mode 1
		.amdhsa_fp16_overflow 0
		.amdhsa_exception_fp_ieee_invalid_op 0
		.amdhsa_exception_fp_denorm_src 0
		.amdhsa_exception_fp_ieee_div_zero 0
		.amdhsa_exception_fp_ieee_overflow 0
		.amdhsa_exception_fp_ieee_underflow 0
		.amdhsa_exception_fp_ieee_inexact 0
		.amdhsa_exception_int_div_zero 0
	.end_amdhsa_kernel
	.section	.text._ZN9rocsparseL22gebsrmvn_mxn_16_kernelILj60ELj10ELj2E21rocsparse_complex_numIfEEEvi20rocsparse_direction_NS_24const_host_device_scalarIT2_EEPKiS8_PKS5_iiSA_S6_PS5_21rocsparse_index_base_b,"axG",@progbits,_ZN9rocsparseL22gebsrmvn_mxn_16_kernelILj60ELj10ELj2E21rocsparse_complex_numIfEEEvi20rocsparse_direction_NS_24const_host_device_scalarIT2_EEPKiS8_PKS5_iiSA_S6_PS5_21rocsparse_index_base_b,comdat
.Lfunc_end79:
	.size	_ZN9rocsparseL22gebsrmvn_mxn_16_kernelILj60ELj10ELj2E21rocsparse_complex_numIfEEEvi20rocsparse_direction_NS_24const_host_device_scalarIT2_EEPKiS8_PKS5_iiSA_S6_PS5_21rocsparse_index_base_b, .Lfunc_end79-_ZN9rocsparseL22gebsrmvn_mxn_16_kernelILj60ELj10ELj2E21rocsparse_complex_numIfEEEvi20rocsparse_direction_NS_24const_host_device_scalarIT2_EEPKiS8_PKS5_iiSA_S6_PS5_21rocsparse_index_base_b
                                        ; -- End function
	.set _ZN9rocsparseL22gebsrmvn_mxn_16_kernelILj60ELj10ELj2E21rocsparse_complex_numIfEEEvi20rocsparse_direction_NS_24const_host_device_scalarIT2_EEPKiS8_PKS5_iiSA_S6_PS5_21rocsparse_index_base_b.num_vgpr, 17
	.set _ZN9rocsparseL22gebsrmvn_mxn_16_kernelILj60ELj10ELj2E21rocsparse_complex_numIfEEEvi20rocsparse_direction_NS_24const_host_device_scalarIT2_EEPKiS8_PKS5_iiSA_S6_PS5_21rocsparse_index_base_b.num_agpr, 0
	.set _ZN9rocsparseL22gebsrmvn_mxn_16_kernelILj60ELj10ELj2E21rocsparse_complex_numIfEEEvi20rocsparse_direction_NS_24const_host_device_scalarIT2_EEPKiS8_PKS5_iiSA_S6_PS5_21rocsparse_index_base_b.numbered_sgpr, 18
	.set _ZN9rocsparseL22gebsrmvn_mxn_16_kernelILj60ELj10ELj2E21rocsparse_complex_numIfEEEvi20rocsparse_direction_NS_24const_host_device_scalarIT2_EEPKiS8_PKS5_iiSA_S6_PS5_21rocsparse_index_base_b.num_named_barrier, 0
	.set _ZN9rocsparseL22gebsrmvn_mxn_16_kernelILj60ELj10ELj2E21rocsparse_complex_numIfEEEvi20rocsparse_direction_NS_24const_host_device_scalarIT2_EEPKiS8_PKS5_iiSA_S6_PS5_21rocsparse_index_base_b.private_seg_size, 0
	.set _ZN9rocsparseL22gebsrmvn_mxn_16_kernelILj60ELj10ELj2E21rocsparse_complex_numIfEEEvi20rocsparse_direction_NS_24const_host_device_scalarIT2_EEPKiS8_PKS5_iiSA_S6_PS5_21rocsparse_index_base_b.uses_vcc, 1
	.set _ZN9rocsparseL22gebsrmvn_mxn_16_kernelILj60ELj10ELj2E21rocsparse_complex_numIfEEEvi20rocsparse_direction_NS_24const_host_device_scalarIT2_EEPKiS8_PKS5_iiSA_S6_PS5_21rocsparse_index_base_b.uses_flat_scratch, 0
	.set _ZN9rocsparseL22gebsrmvn_mxn_16_kernelILj60ELj10ELj2E21rocsparse_complex_numIfEEEvi20rocsparse_direction_NS_24const_host_device_scalarIT2_EEPKiS8_PKS5_iiSA_S6_PS5_21rocsparse_index_base_b.has_dyn_sized_stack, 0
	.set _ZN9rocsparseL22gebsrmvn_mxn_16_kernelILj60ELj10ELj2E21rocsparse_complex_numIfEEEvi20rocsparse_direction_NS_24const_host_device_scalarIT2_EEPKiS8_PKS5_iiSA_S6_PS5_21rocsparse_index_base_b.has_recursion, 0
	.set _ZN9rocsparseL22gebsrmvn_mxn_16_kernelILj60ELj10ELj2E21rocsparse_complex_numIfEEEvi20rocsparse_direction_NS_24const_host_device_scalarIT2_EEPKiS8_PKS5_iiSA_S6_PS5_21rocsparse_index_base_b.has_indirect_call, 0
	.section	.AMDGPU.csdata,"",@progbits
; Kernel info:
; codeLenInByte = 996
; TotalNumSgprs: 22
; NumVgprs: 17
; ScratchSize: 0
; MemoryBound: 0
; FloatMode: 240
; IeeeMode: 1
; LDSByteSize: 480 bytes/workgroup (compile time only)
; SGPRBlocks: 2
; VGPRBlocks: 4
; NumSGPRsForWavesPerEU: 22
; NumVGPRsForWavesPerEU: 17
; Occupancy: 10
; WaveLimiterHint : 1
; COMPUTE_PGM_RSRC2:SCRATCH_EN: 0
; COMPUTE_PGM_RSRC2:USER_SGPR: 6
; COMPUTE_PGM_RSRC2:TRAP_HANDLER: 0
; COMPUTE_PGM_RSRC2:TGID_X_EN: 1
; COMPUTE_PGM_RSRC2:TGID_Y_EN: 0
; COMPUTE_PGM_RSRC2:TGID_Z_EN: 0
; COMPUTE_PGM_RSRC2:TIDIG_COMP_CNT: 0
	.section	.text._ZN9rocsparseL22gebsrmvn_mxn_16_kernelILj60ELj10ELj3E21rocsparse_complex_numIfEEEvi20rocsparse_direction_NS_24const_host_device_scalarIT2_EEPKiS8_PKS5_iiSA_S6_PS5_21rocsparse_index_base_b,"axG",@progbits,_ZN9rocsparseL22gebsrmvn_mxn_16_kernelILj60ELj10ELj3E21rocsparse_complex_numIfEEEvi20rocsparse_direction_NS_24const_host_device_scalarIT2_EEPKiS8_PKS5_iiSA_S6_PS5_21rocsparse_index_base_b,comdat
	.globl	_ZN9rocsparseL22gebsrmvn_mxn_16_kernelILj60ELj10ELj3E21rocsparse_complex_numIfEEEvi20rocsparse_direction_NS_24const_host_device_scalarIT2_EEPKiS8_PKS5_iiSA_S6_PS5_21rocsparse_index_base_b ; -- Begin function _ZN9rocsparseL22gebsrmvn_mxn_16_kernelILj60ELj10ELj3E21rocsparse_complex_numIfEEEvi20rocsparse_direction_NS_24const_host_device_scalarIT2_EEPKiS8_PKS5_iiSA_S6_PS5_21rocsparse_index_base_b
	.p2align	8
	.type	_ZN9rocsparseL22gebsrmvn_mxn_16_kernelILj60ELj10ELj3E21rocsparse_complex_numIfEEEvi20rocsparse_direction_NS_24const_host_device_scalarIT2_EEPKiS8_PKS5_iiSA_S6_PS5_21rocsparse_index_base_b,@function
_ZN9rocsparseL22gebsrmvn_mxn_16_kernelILj60ELj10ELj3E21rocsparse_complex_numIfEEEvi20rocsparse_direction_NS_24const_host_device_scalarIT2_EEPKiS8_PKS5_iiSA_S6_PS5_21rocsparse_index_base_b: ; @_ZN9rocsparseL22gebsrmvn_mxn_16_kernelILj60ELj10ELj3E21rocsparse_complex_numIfEEEvi20rocsparse_direction_NS_24const_host_device_scalarIT2_EEPKiS8_PKS5_iiSA_S6_PS5_21rocsparse_index_base_b
; %bb.0:
	s_load_dwordx2 s[0:1], s[4:5], 0x8
	s_load_dwordx2 s[2:3], s[4:5], 0x38
	;; [unrolled: 1-line block ×3, first 2 shown]
	s_add_u32 s7, s4, 8
	s_addc_u32 s8, s5, 0
	s_add_u32 s9, s4, 56
	s_addc_u32 s12, s5, 0
	s_waitcnt lgkmcnt(0)
	s_bitcmp1_b32 s11, 0
	s_cselect_b32 s1, s8, s1
	s_cselect_b32 s0, s7, s0
	v_mov_b32_e32 v1, s0
	v_mov_b32_e32 v2, s1
	flat_load_dwordx2 v[3:4], v[1:2]
	s_cselect_b32 s0, s12, s3
	s_cselect_b32 s1, s9, s2
	v_mov_b32_e32 v1, s1
	v_mov_b32_e32 v2, s0
	flat_load_dwordx2 v[1:2], v[1:2]
	s_waitcnt vmcnt(0) lgkmcnt(0)
	v_cmp_eq_f32_e32 vcc, 0, v3
	v_cmp_eq_f32_e64 s[0:1], 0, v4
	s_and_b64 s[8:9], vcc, s[0:1]
	s_mov_b64 s[0:1], -1
	s_and_saveexec_b64 s[2:3], s[8:9]
; %bb.1:
	v_cmp_neq_f32_e32 vcc, 1.0, v1
	v_cmp_neq_f32_e64 s[0:1], 0, v2
	s_or_b64 s[0:1], vcc, s[0:1]
	s_orn2_b64 s[0:1], s[0:1], exec
; %bb.2:
	s_or_b64 exec, exec, s[2:3]
	s_and_saveexec_b64 s[2:3], s[0:1]
	s_cbranch_execz .LBB80_33
; %bb.3:
	s_load_dwordx2 s[0:1], s[4:5], 0x10
	s_load_dword s2, s[4:5], 0x4
	v_mul_u32_u24_e32 v6, 0x5556, v0
	v_mov_b32_e32 v5, 3
	v_mul_lo_u16_sdwa v6, v6, v5 dst_sel:DWORD dst_unused:UNUSED_PAD src0_sel:WORD_1 src1_sel:DWORD
	v_sub_u16_e32 v12, v0, v6
	s_waitcnt lgkmcnt(0)
	s_cmp_lg_u32 s2, 1
	s_cselect_b64 s[12:13], -1, 0
	s_and_b64 vcc, exec, s[12:13]
	v_mov_b32_e32 v7, v12
	s_cbranch_vccnz .LBB80_5
; %bb.4:
	s_movk_i32 s2, 0x199a
	v_mul_u32_u24_sdwa v6, v0, s2 dst_sel:DWORD dst_unused:UNUSED_PAD src0_sel:WORD_0 src1_sel:DWORD
	s_movk_i32 s2, 0x56
	v_mul_lo_u16_sdwa v7, v6, s2 dst_sel:DWORD dst_unused:UNUSED_PAD src0_sel:WORD_1 src1_sel:DWORD
	v_mul_lo_u16_sdwa v5, v7, v5 dst_sel:DWORD dst_unused:UNUSED_PAD src0_sel:BYTE_1 src1_sel:DWORD
	v_sub_u16_sdwa v5, v6, v5 dst_sel:DWORD dst_unused:UNUSED_PAD src0_sel:WORD_1 src1_sel:DWORD
	v_and_b32_e32 v7, 0xff, v5
.LBB80_5:
	s_ashr_i32 s7, s6, 31
	s_lshl_b64 s[2:3], s[6:7], 2
	s_add_u32 s0, s0, s2
	s_addc_u32 s1, s1, s3
	s_load_dwordx2 s[16:17], s[0:1], 0x0
	s_load_dwordx2 s[8:9], s[4:5], 0x40
	v_mov_b32_e32 v6, 0
	v_mov_b32_e32 v5, 0
	s_waitcnt lgkmcnt(0)
	s_cmp_ge_i32 s16, s17
	s_cbranch_scc1 .LBB80_10
; %bb.6:
	s_load_dwordx4 s[0:3], s[4:5], 0x18
	s_load_dwordx2 s[14:15], s[4:5], 0x30
	v_mad_u64_u32 v[5:6], s[4:5], s16, 30, v[0:1]
	s_movk_i32 s4, 0x889
	v_mul_u32_u24_sdwa v13, v0, s4 dst_sel:DWORD dst_unused:UNUSED_PAD src0_sel:WORD_0 src1_sel:DWORD
	s_mul_i32 s4, s10, 30
	v_mov_b32_e32 v9, 0
	s_sub_i32 s7, s17, s10
	s_sub_i32 s11, s16, s10
	v_subrev_u32_e32 v8, s4, v5
	v_mov_b32_e32 v6, v9
	v_mov_b32_e32 v5, v9
	s_branch .LBB80_8
.LBB80_7:                               ;   in Loop: Header=BB80_8 Depth=1
	s_or_b64 exec, exec, s[4:5]
	s_add_i32 s11, s11, 2
	s_cmp_ge_i32 s11, s7
	v_add_u32_e32 v8, 60, v8
	s_cbranch_scc1 .LBB80_10
.LBB80_8:                               ; =>This Inner Loop Header: Depth=1
	v_add_u32_sdwa v10, v13, s11 dst_sel:DWORD dst_unused:UNUSED_PAD src0_sel:WORD_1 src1_sel:DWORD
	v_cmp_gt_i32_e32 vcc, s7, v10
	s_and_saveexec_b64 s[4:5], vcc
	s_cbranch_execz .LBB80_7
; %bb.9:                                ;   in Loop: Header=BB80_8 Depth=1
	v_ashrrev_i32_e32 v11, 31, v10
	v_lshlrev_b64 v[10:11], 2, v[10:11]
	s_waitcnt lgkmcnt(0)
	v_mov_b32_e32 v14, s1
	v_add_co_u32_e32 v10, vcc, s0, v10
	v_addc_co_u32_e32 v11, vcc, v14, v11, vcc
	global_load_dword v14, v[10:11], off
	v_lshlrev_b64 v[10:11], 3, v[8:9]
	v_mov_b32_e32 v16, s3
	v_add_co_u32_e32 v10, vcc, s2, v10
	v_addc_co_u32_e32 v11, vcc, v16, v11, vcc
	v_mov_b32_e32 v17, s15
	global_load_dwordx2 v[10:11], v[10:11], off
	s_waitcnt vmcnt(1)
	v_subrev_u32_e32 v14, s10, v14
	v_mad_u64_u32 v[14:15], s[16:17], v14, 3, v[7:8]
	v_ashrrev_i32_e32 v15, 31, v14
	v_lshlrev_b64 v[14:15], 3, v[14:15]
	v_add_co_u32_e32 v14, vcc, s14, v14
	v_addc_co_u32_e32 v15, vcc, v17, v15, vcc
	global_load_dwordx2 v[14:15], v[14:15], off
	s_waitcnt vmcnt(0)
	v_fmac_f32_e32 v5, v10, v14
	v_fmac_f32_e32 v6, v11, v14
	v_fma_f32 v5, -v11, v15, v5
	v_fmac_f32_e32 v6, v10, v15
	s_branch .LBB80_7
.LBB80_10:
	v_lshlrev_b32_e32 v9, 3, v0
	v_cmp_gt_u32_e32 vcc, 30, v0
	ds_write_b64 v9, v[5:6]
	s_waitcnt lgkmcnt(0)
	; wave barrier
	s_and_saveexec_b64 s[0:1], vcc
	s_cbranch_execz .LBB80_12
; %bb.11:
	ds_read2_b64 v[13:16], v9 offset1:30
	s_waitcnt lgkmcnt(0)
	v_add_f32_e32 v7, v15, v13
	v_add_f32_e32 v8, v16, v14
	ds_write_b64 v9, v[7:8]
.LBB80_12:
	s_or_b64 exec, exec, s[0:1]
	s_and_b64 vcc, exec, s[12:13]
	s_waitcnt lgkmcnt(0)
	; wave barrier
	s_cbranch_vccz .LBB80_20
; %bb.13:
	v_cmp_eq_u16_e32 vcc, 0, v12
	s_and_saveexec_b64 s[0:1], vcc
	s_cbranch_execz .LBB80_15
; %bb.14:
	ds_read2_b64 v[10:13], v9 offset1:2
	s_waitcnt lgkmcnt(0)
	v_add_f32_e32 v7, v12, v10
	v_add_f32_e32 v8, v13, v11
	ds_write_b64 v9, v[7:8]
.LBB80_15:
	s_or_b64 exec, exec, s[0:1]
	s_waitcnt lgkmcnt(0)
	; wave barrier
	s_and_saveexec_b64 s[0:1], vcc
	s_cbranch_execz .LBB80_17
; %bb.16:
	ds_read2_b64 v[10:13], v9 offset1:1
	s_waitcnt lgkmcnt(0)
	v_add_f32_e32 v7, v12, v10
	v_add_f32_e32 v8, v13, v11
	ds_write_b64 v9, v[7:8]
.LBB80_17:
	s_or_b64 exec, exec, s[0:1]
	v_cmp_gt_u32_e32 vcc, 10, v0
	v_mov_b32_e32 v8, v6
	v_mov_b32_e32 v7, v5
	s_waitcnt lgkmcnt(0)
	; wave barrier
	s_and_saveexec_b64 s[0:1], vcc
; %bb.18:
	v_lshl_add_u32 v7, v0, 4, v9
	ds_read_b64 v[7:8], v7
; %bb.19:
	s_or_b64 exec, exec, s[0:1]
	v_cmp_gt_u32_e64 s[0:1], 10, v0
	s_branch .LBB80_28
.LBB80_20:
                                        ; implicit-def: $vgpr8
	v_cmp_gt_u32_e64 s[0:1], 10, v0
	s_cbranch_execz .LBB80_28
; %bb.21:
	v_cmp_lt_u32_e32 vcc, 9, v0
	s_and_saveexec_b64 s[2:3], s[0:1]
	s_cbranch_execz .LBB80_23
; %bb.22:
	ds_read2_b64 v[10:13], v9 offset1:20
	s_waitcnt lgkmcnt(0)
	v_add_f32_e32 v7, v12, v10
	v_add_f32_e32 v8, v13, v11
	ds_write_b64 v9, v[7:8]
.LBB80_23:
	s_or_b64 exec, exec, s[2:3]
	s_waitcnt lgkmcnt(0)
	; wave barrier
	s_and_saveexec_b64 s[0:1], vcc
	s_xor_b64 s[0:1], exec, s[0:1]
; %bb.24:
                                        ; implicit-def: $vgpr9
; %bb.25:
	s_andn2_saveexec_b64 s[0:1], s[0:1]
	s_cbranch_execz .LBB80_27
; %bb.26:
	ds_read2_b64 v[5:8], v9 offset1:10
	s_waitcnt lgkmcnt(0)
	v_add_f32_e32 v5, v7, v5
	v_add_f32_e32 v6, v8, v6
	ds_write_b64 v9, v[5:6]
	s_waitcnt lgkmcnt(0)
	ds_read_b64 v[5:6], v9
.LBB80_27:
	s_or_b64 exec, exec, s[0:1]
	s_waitcnt lgkmcnt(0)
	v_mov_b32_e32 v8, v6
	v_mov_b32_e32 v7, v5
.LBB80_28:
	v_cmp_gt_u32_e32 vcc, 10, v0
	s_and_b64 exec, exec, vcc
	s_cbranch_execz .LBB80_33
; %bb.29:
	v_cmp_eq_f32_e32 vcc, 0, v1
	v_cmp_eq_f32_e64 s[0:1], 0, v2
	s_waitcnt lgkmcnt(0)
	v_mul_f32_e64 v5, v8, -v4
	v_mul_f32_e32 v6, v3, v8
	s_and_b64 s[0:1], vcc, s[0:1]
	v_fmac_f32_e32 v5, v3, v7
	v_fmac_f32_e32 v6, v4, v7
	s_and_saveexec_b64 s[2:3], s[0:1]
	s_xor_b64 s[0:1], exec, s[2:3]
	s_cbranch_execz .LBB80_31
; %bb.30:
	v_mad_u64_u32 v[0:1], s[2:3], s6, 10, v[0:1]
	v_mov_b32_e32 v1, 0
	v_mov_b32_e32 v2, s9
	v_lshlrev_b64 v[0:1], 3, v[0:1]
	v_add_co_u32_e32 v0, vcc, s8, v0
	v_addc_co_u32_e32 v1, vcc, v2, v1, vcc
	global_store_dwordx2 v[0:1], v[5:6], off
                                        ; implicit-def: $vgpr0
                                        ; implicit-def: $vgpr1_vgpr2
                                        ; implicit-def: $vgpr5
.LBB80_31:
	s_andn2_saveexec_b64 s[0:1], s[0:1]
	s_cbranch_execz .LBB80_33
; %bb.32:
	v_mad_u64_u32 v[3:4], s[0:1], s6, 10, v[0:1]
	v_mov_b32_e32 v4, 0
	v_mov_b32_e32 v0, s9
	v_lshlrev_b64 v[3:4], 3, v[3:4]
	v_add_co_u32_e32 v3, vcc, s8, v3
	v_addc_co_u32_e32 v4, vcc, v0, v4, vcc
	global_load_dwordx2 v[7:8], v[3:4], off
	s_waitcnt vmcnt(0)
	v_fmac_f32_e32 v5, v1, v7
	v_fmac_f32_e32 v6, v2, v7
	v_fma_f32 v5, -v2, v8, v5
	v_fmac_f32_e32 v6, v1, v8
	global_store_dwordx2 v[3:4], v[5:6], off
.LBB80_33:
	s_endpgm
	.section	.rodata,"a",@progbits
	.p2align	6, 0x0
	.amdhsa_kernel _ZN9rocsparseL22gebsrmvn_mxn_16_kernelILj60ELj10ELj3E21rocsparse_complex_numIfEEEvi20rocsparse_direction_NS_24const_host_device_scalarIT2_EEPKiS8_PKS5_iiSA_S6_PS5_21rocsparse_index_base_b
		.amdhsa_group_segment_fixed_size 480
		.amdhsa_private_segment_fixed_size 0
		.amdhsa_kernarg_size 80
		.amdhsa_user_sgpr_count 6
		.amdhsa_user_sgpr_private_segment_buffer 1
		.amdhsa_user_sgpr_dispatch_ptr 0
		.amdhsa_user_sgpr_queue_ptr 0
		.amdhsa_user_sgpr_kernarg_segment_ptr 1
		.amdhsa_user_sgpr_dispatch_id 0
		.amdhsa_user_sgpr_flat_scratch_init 0
		.amdhsa_user_sgpr_private_segment_size 0
		.amdhsa_uses_dynamic_stack 0
		.amdhsa_system_sgpr_private_segment_wavefront_offset 0
		.amdhsa_system_sgpr_workgroup_id_x 1
		.amdhsa_system_sgpr_workgroup_id_y 0
		.amdhsa_system_sgpr_workgroup_id_z 0
		.amdhsa_system_sgpr_workgroup_info 0
		.amdhsa_system_vgpr_workitem_id 0
		.amdhsa_next_free_vgpr 18
		.amdhsa_next_free_sgpr 18
		.amdhsa_reserve_vcc 1
		.amdhsa_reserve_flat_scratch 0
		.amdhsa_float_round_mode_32 0
		.amdhsa_float_round_mode_16_64 0
		.amdhsa_float_denorm_mode_32 3
		.amdhsa_float_denorm_mode_16_64 3
		.amdhsa_dx10_clamp 1
		.amdhsa_ieee_mode 1
		.amdhsa_fp16_overflow 0
		.amdhsa_exception_fp_ieee_invalid_op 0
		.amdhsa_exception_fp_denorm_src 0
		.amdhsa_exception_fp_ieee_div_zero 0
		.amdhsa_exception_fp_ieee_overflow 0
		.amdhsa_exception_fp_ieee_underflow 0
		.amdhsa_exception_fp_ieee_inexact 0
		.amdhsa_exception_int_div_zero 0
	.end_amdhsa_kernel
	.section	.text._ZN9rocsparseL22gebsrmvn_mxn_16_kernelILj60ELj10ELj3E21rocsparse_complex_numIfEEEvi20rocsparse_direction_NS_24const_host_device_scalarIT2_EEPKiS8_PKS5_iiSA_S6_PS5_21rocsparse_index_base_b,"axG",@progbits,_ZN9rocsparseL22gebsrmvn_mxn_16_kernelILj60ELj10ELj3E21rocsparse_complex_numIfEEEvi20rocsparse_direction_NS_24const_host_device_scalarIT2_EEPKiS8_PKS5_iiSA_S6_PS5_21rocsparse_index_base_b,comdat
.Lfunc_end80:
	.size	_ZN9rocsparseL22gebsrmvn_mxn_16_kernelILj60ELj10ELj3E21rocsparse_complex_numIfEEEvi20rocsparse_direction_NS_24const_host_device_scalarIT2_EEPKiS8_PKS5_iiSA_S6_PS5_21rocsparse_index_base_b, .Lfunc_end80-_ZN9rocsparseL22gebsrmvn_mxn_16_kernelILj60ELj10ELj3E21rocsparse_complex_numIfEEEvi20rocsparse_direction_NS_24const_host_device_scalarIT2_EEPKiS8_PKS5_iiSA_S6_PS5_21rocsparse_index_base_b
                                        ; -- End function
	.set _ZN9rocsparseL22gebsrmvn_mxn_16_kernelILj60ELj10ELj3E21rocsparse_complex_numIfEEEvi20rocsparse_direction_NS_24const_host_device_scalarIT2_EEPKiS8_PKS5_iiSA_S6_PS5_21rocsparse_index_base_b.num_vgpr, 18
	.set _ZN9rocsparseL22gebsrmvn_mxn_16_kernelILj60ELj10ELj3E21rocsparse_complex_numIfEEEvi20rocsparse_direction_NS_24const_host_device_scalarIT2_EEPKiS8_PKS5_iiSA_S6_PS5_21rocsparse_index_base_b.num_agpr, 0
	.set _ZN9rocsparseL22gebsrmvn_mxn_16_kernelILj60ELj10ELj3E21rocsparse_complex_numIfEEEvi20rocsparse_direction_NS_24const_host_device_scalarIT2_EEPKiS8_PKS5_iiSA_S6_PS5_21rocsparse_index_base_b.numbered_sgpr, 18
	.set _ZN9rocsparseL22gebsrmvn_mxn_16_kernelILj60ELj10ELj3E21rocsparse_complex_numIfEEEvi20rocsparse_direction_NS_24const_host_device_scalarIT2_EEPKiS8_PKS5_iiSA_S6_PS5_21rocsparse_index_base_b.num_named_barrier, 0
	.set _ZN9rocsparseL22gebsrmvn_mxn_16_kernelILj60ELj10ELj3E21rocsparse_complex_numIfEEEvi20rocsparse_direction_NS_24const_host_device_scalarIT2_EEPKiS8_PKS5_iiSA_S6_PS5_21rocsparse_index_base_b.private_seg_size, 0
	.set _ZN9rocsparseL22gebsrmvn_mxn_16_kernelILj60ELj10ELj3E21rocsparse_complex_numIfEEEvi20rocsparse_direction_NS_24const_host_device_scalarIT2_EEPKiS8_PKS5_iiSA_S6_PS5_21rocsparse_index_base_b.uses_vcc, 1
	.set _ZN9rocsparseL22gebsrmvn_mxn_16_kernelILj60ELj10ELj3E21rocsparse_complex_numIfEEEvi20rocsparse_direction_NS_24const_host_device_scalarIT2_EEPKiS8_PKS5_iiSA_S6_PS5_21rocsparse_index_base_b.uses_flat_scratch, 0
	.set _ZN9rocsparseL22gebsrmvn_mxn_16_kernelILj60ELj10ELj3E21rocsparse_complex_numIfEEEvi20rocsparse_direction_NS_24const_host_device_scalarIT2_EEPKiS8_PKS5_iiSA_S6_PS5_21rocsparse_index_base_b.has_dyn_sized_stack, 0
	.set _ZN9rocsparseL22gebsrmvn_mxn_16_kernelILj60ELj10ELj3E21rocsparse_complex_numIfEEEvi20rocsparse_direction_NS_24const_host_device_scalarIT2_EEPKiS8_PKS5_iiSA_S6_PS5_21rocsparse_index_base_b.has_recursion, 0
	.set _ZN9rocsparseL22gebsrmvn_mxn_16_kernelILj60ELj10ELj3E21rocsparse_complex_numIfEEEvi20rocsparse_direction_NS_24const_host_device_scalarIT2_EEPKiS8_PKS5_iiSA_S6_PS5_21rocsparse_index_base_b.has_indirect_call, 0
	.section	.AMDGPU.csdata,"",@progbits
; Kernel info:
; codeLenInByte = 1100
; TotalNumSgprs: 22
; NumVgprs: 18
; ScratchSize: 0
; MemoryBound: 0
; FloatMode: 240
; IeeeMode: 1
; LDSByteSize: 480 bytes/workgroup (compile time only)
; SGPRBlocks: 2
; VGPRBlocks: 4
; NumSGPRsForWavesPerEU: 22
; NumVGPRsForWavesPerEU: 18
; Occupancy: 10
; WaveLimiterHint : 1
; COMPUTE_PGM_RSRC2:SCRATCH_EN: 0
; COMPUTE_PGM_RSRC2:USER_SGPR: 6
; COMPUTE_PGM_RSRC2:TRAP_HANDLER: 0
; COMPUTE_PGM_RSRC2:TGID_X_EN: 1
; COMPUTE_PGM_RSRC2:TGID_Y_EN: 0
; COMPUTE_PGM_RSRC2:TGID_Z_EN: 0
; COMPUTE_PGM_RSRC2:TIDIG_COMP_CNT: 0
	.section	.text._ZN9rocsparseL22gebsrmvn_mxn_16_kernelILj40ELj10ELj4E21rocsparse_complex_numIfEEEvi20rocsparse_direction_NS_24const_host_device_scalarIT2_EEPKiS8_PKS5_iiSA_S6_PS5_21rocsparse_index_base_b,"axG",@progbits,_ZN9rocsparseL22gebsrmvn_mxn_16_kernelILj40ELj10ELj4E21rocsparse_complex_numIfEEEvi20rocsparse_direction_NS_24const_host_device_scalarIT2_EEPKiS8_PKS5_iiSA_S6_PS5_21rocsparse_index_base_b,comdat
	.globl	_ZN9rocsparseL22gebsrmvn_mxn_16_kernelILj40ELj10ELj4E21rocsparse_complex_numIfEEEvi20rocsparse_direction_NS_24const_host_device_scalarIT2_EEPKiS8_PKS5_iiSA_S6_PS5_21rocsparse_index_base_b ; -- Begin function _ZN9rocsparseL22gebsrmvn_mxn_16_kernelILj40ELj10ELj4E21rocsparse_complex_numIfEEEvi20rocsparse_direction_NS_24const_host_device_scalarIT2_EEPKiS8_PKS5_iiSA_S6_PS5_21rocsparse_index_base_b
	.p2align	8
	.type	_ZN9rocsparseL22gebsrmvn_mxn_16_kernelILj40ELj10ELj4E21rocsparse_complex_numIfEEEvi20rocsparse_direction_NS_24const_host_device_scalarIT2_EEPKiS8_PKS5_iiSA_S6_PS5_21rocsparse_index_base_b,@function
_ZN9rocsparseL22gebsrmvn_mxn_16_kernelILj40ELj10ELj4E21rocsparse_complex_numIfEEEvi20rocsparse_direction_NS_24const_host_device_scalarIT2_EEPKiS8_PKS5_iiSA_S6_PS5_21rocsparse_index_base_b: ; @_ZN9rocsparseL22gebsrmvn_mxn_16_kernelILj40ELj10ELj4E21rocsparse_complex_numIfEEEvi20rocsparse_direction_NS_24const_host_device_scalarIT2_EEPKiS8_PKS5_iiSA_S6_PS5_21rocsparse_index_base_b
; %bb.0:
	s_load_dwordx2 s[0:1], s[4:5], 0x8
	s_load_dwordx2 s[2:3], s[4:5], 0x38
	;; [unrolled: 1-line block ×3, first 2 shown]
	s_add_u32 s7, s4, 8
	s_addc_u32 s8, s5, 0
	s_add_u32 s9, s4, 56
	s_addc_u32 s12, s5, 0
	s_waitcnt lgkmcnt(0)
	s_bitcmp1_b32 s11, 0
	s_cselect_b32 s1, s8, s1
	s_cselect_b32 s0, s7, s0
	v_mov_b32_e32 v1, s0
	v_mov_b32_e32 v2, s1
	flat_load_dwordx2 v[3:4], v[1:2]
	s_cselect_b32 s0, s12, s3
	s_cselect_b32 s1, s9, s2
	v_mov_b32_e32 v1, s1
	v_mov_b32_e32 v2, s0
	flat_load_dwordx2 v[1:2], v[1:2]
	s_waitcnt vmcnt(0) lgkmcnt(0)
	v_cmp_eq_f32_e32 vcc, 0, v3
	v_cmp_eq_f32_e64 s[0:1], 0, v4
	s_and_b64 s[8:9], vcc, s[0:1]
	s_mov_b64 s[0:1], -1
	s_and_saveexec_b64 s[2:3], s[8:9]
; %bb.1:
	v_cmp_neq_f32_e32 vcc, 1.0, v1
	v_cmp_neq_f32_e64 s[0:1], 0, v2
	s_or_b64 s[0:1], vcc, s[0:1]
	s_orn2_b64 s[0:1], s[0:1], exec
; %bb.2:
	s_or_b64 exec, exec, s[2:3]
	s_and_saveexec_b64 s[2:3], s[0:1]
	s_cbranch_execz .LBB81_31
; %bb.3:
	s_load_dword s2, s[4:5], 0x4
	s_load_dwordx2 s[0:1], s[4:5], 0x10
	v_and_b32_e32 v11, 3, v0
	v_mov_b32_e32 v12, v11
	s_waitcnt lgkmcnt(0)
	s_cmp_lg_u32 s2, 1
	s_cselect_b64 s[12:13], -1, 0
	s_and_b64 vcc, exec, s[12:13]
	s_cbranch_vccnz .LBB81_5
; %bb.4:
	v_mul_u32_u24_e32 v5, 0x199a, v0
	v_bfe_u32 v12, v5, 16, 2
.LBB81_5:
	s_ashr_i32 s7, s6, 31
	s_lshl_b64 s[2:3], s[6:7], 2
	s_add_u32 s0, s0, s2
	s_addc_u32 s1, s1, s3
	s_load_dwordx2 s[16:17], s[0:1], 0x0
	s_load_dwordx2 s[8:9], s[4:5], 0x40
	v_mov_b32_e32 v6, 0
	v_mov_b32_e32 v5, 0
	s_waitcnt lgkmcnt(0)
	s_cmp_ge_i32 s16, s17
	s_cbranch_scc1 .LBB81_10
; %bb.6:
	s_load_dwordx4 s[0:3], s[4:5], 0x18
	s_load_dwordx2 s[14:15], s[4:5], 0x30
	v_mad_u64_u32 v[5:6], s[4:5], s16, 40, v[0:1]
	s_mul_i32 s4, s10, 40
	v_mov_b32_e32 v8, 0
	s_sub_i32 s7, s17, s10
	s_sub_i32 s11, s16, s10
	v_mul_u32_u24_e32 v13, 0x667, v0
	v_subrev_u32_e32 v7, s4, v5
	v_mov_b32_e32 v6, v8
	v_mov_b32_e32 v5, v8
	s_branch .LBB81_8
.LBB81_7:                               ;   in Loop: Header=BB81_8 Depth=1
	s_or_b64 exec, exec, s[4:5]
	s_add_i32 s11, s11, 1
	s_cmp_ge_i32 s11, s7
	v_add_u32_e32 v7, 40, v7
	s_cbranch_scc1 .LBB81_10
.LBB81_8:                               ; =>This Inner Loop Header: Depth=1
	v_add_u32_sdwa v9, v13, s11 dst_sel:DWORD dst_unused:UNUSED_PAD src0_sel:WORD_1 src1_sel:DWORD
	v_cmp_gt_i32_e32 vcc, s7, v9
	s_and_saveexec_b64 s[4:5], vcc
	s_cbranch_execz .LBB81_7
; %bb.9:                                ;   in Loop: Header=BB81_8 Depth=1
	v_ashrrev_i32_e32 v10, 31, v9
	v_lshlrev_b64 v[9:10], 2, v[9:10]
	s_waitcnt lgkmcnt(0)
	v_mov_b32_e32 v14, s1
	v_add_co_u32_e32 v9, vcc, s0, v9
	v_addc_co_u32_e32 v10, vcc, v14, v10, vcc
	global_load_dword v14, v[9:10], off
	v_lshlrev_b64 v[9:10], 3, v[7:8]
	v_mov_b32_e32 v15, s3
	v_add_co_u32_e32 v9, vcc, s2, v9
	v_addc_co_u32_e32 v10, vcc, v15, v10, vcc
	v_mov_b32_e32 v16, s15
	global_load_dwordx2 v[9:10], v[9:10], off
	s_waitcnt vmcnt(1)
	v_subrev_u32_e32 v14, s10, v14
	v_lshl_or_b32 v14, v14, 2, v12
	v_ashrrev_i32_e32 v15, 31, v14
	v_lshlrev_b64 v[14:15], 3, v[14:15]
	v_add_co_u32_e32 v14, vcc, s14, v14
	v_addc_co_u32_e32 v15, vcc, v16, v15, vcc
	global_load_dwordx2 v[14:15], v[14:15], off
	s_waitcnt vmcnt(0)
	v_fmac_f32_e32 v5, v9, v14
	v_fmac_f32_e32 v6, v10, v14
	v_fma_f32 v5, -v10, v15, v5
	v_fmac_f32_e32 v6, v9, v15
	s_branch .LBB81_7
.LBB81_10:
	v_lshlrev_b32_e32 v9, 3, v0
	s_and_b64 vcc, exec, s[12:13]
	ds_write_b64 v9, v[5:6]
	s_waitcnt lgkmcnt(0)
	; wave barrier
	s_cbranch_vccz .LBB81_18
; %bb.11:
	v_cmp_gt_u32_e32 vcc, 2, v11
	s_and_saveexec_b64 s[0:1], vcc
	s_cbranch_execz .LBB81_13
; %bb.12:
	ds_read2_b64 v[12:15], v9 offset1:2
	s_waitcnt lgkmcnt(0)
	v_add_f32_e32 v7, v14, v12
	v_add_f32_e32 v8, v15, v13
	ds_write_b64 v9, v[7:8]
.LBB81_13:
	s_or_b64 exec, exec, s[0:1]
	v_cmp_eq_u32_e32 vcc, 0, v11
	s_waitcnt lgkmcnt(0)
	; wave barrier
	s_and_saveexec_b64 s[0:1], vcc
	s_cbranch_execz .LBB81_15
; %bb.14:
	ds_read2_b64 v[10:13], v9 offset1:1
	s_waitcnt lgkmcnt(0)
	v_add_f32_e32 v7, v12, v10
	v_add_f32_e32 v8, v13, v11
	ds_write_b64 v9, v[7:8]
.LBB81_15:
	s_or_b64 exec, exec, s[0:1]
	v_cmp_gt_u32_e32 vcc, 10, v0
	v_mov_b32_e32 v8, v6
	v_mov_b32_e32 v7, v5
	s_waitcnt lgkmcnt(0)
	; wave barrier
	s_and_saveexec_b64 s[0:1], vcc
; %bb.16:
	v_mad_u32_u24 v7, v0, 24, v9
	ds_read_b64 v[7:8], v7
; %bb.17:
	s_or_b64 exec, exec, s[0:1]
	s_branch .LBB81_26
.LBB81_18:
                                        ; implicit-def: $vgpr8
	s_cbranch_execz .LBB81_26
; %bb.19:
	v_cmp_gt_u32_e32 vcc, 20, v0
	s_and_saveexec_b64 s[0:1], vcc
	s_cbranch_execz .LBB81_21
; %bb.20:
	ds_read2_b64 v[10:13], v9 offset1:20
	s_waitcnt lgkmcnt(0)
	v_add_f32_e32 v7, v12, v10
	v_add_f32_e32 v8, v13, v11
	ds_write_b64 v9, v[7:8]
.LBB81_21:
	s_or_b64 exec, exec, s[0:1]
	v_cmp_lt_u32_e32 vcc, 9, v0
	s_waitcnt lgkmcnt(0)
	s_and_saveexec_b64 s[0:1], vcc
	s_xor_b64 s[0:1], exec, s[0:1]
; %bb.22:
                                        ; implicit-def: $vgpr9
; %bb.23:
	s_andn2_saveexec_b64 s[0:1], s[0:1]
	s_cbranch_execz .LBB81_25
; %bb.24:
	ds_read2_b64 v[5:8], v9 offset1:10
	s_waitcnt lgkmcnt(0)
	v_add_f32_e32 v5, v7, v5
	v_add_f32_e32 v6, v8, v6
	ds_write_b64 v9, v[5:6]
	s_waitcnt lgkmcnt(0)
	ds_read_b64 v[5:6], v9
.LBB81_25:
	s_or_b64 exec, exec, s[0:1]
	s_waitcnt lgkmcnt(0)
	v_mov_b32_e32 v8, v6
	v_mov_b32_e32 v7, v5
.LBB81_26:
	v_cmp_gt_u32_e32 vcc, 10, v0
	s_and_b64 exec, exec, vcc
	s_cbranch_execz .LBB81_31
; %bb.27:
	v_cmp_eq_f32_e32 vcc, 0, v1
	v_cmp_eq_f32_e64 s[0:1], 0, v2
	s_waitcnt lgkmcnt(0)
	v_mul_f32_e64 v5, v8, -v4
	v_mul_f32_e32 v6, v3, v8
	s_and_b64 s[0:1], vcc, s[0:1]
	v_fmac_f32_e32 v5, v3, v7
	v_fmac_f32_e32 v6, v4, v7
	s_and_saveexec_b64 s[2:3], s[0:1]
	s_xor_b64 s[0:1], exec, s[2:3]
	s_cbranch_execz .LBB81_29
; %bb.28:
	v_mad_u64_u32 v[0:1], s[2:3], s6, 10, v[0:1]
	v_mov_b32_e32 v1, 0
	v_mov_b32_e32 v2, s9
	v_lshlrev_b64 v[0:1], 3, v[0:1]
	v_add_co_u32_e32 v0, vcc, s8, v0
	v_addc_co_u32_e32 v1, vcc, v2, v1, vcc
	global_store_dwordx2 v[0:1], v[5:6], off
                                        ; implicit-def: $vgpr0
                                        ; implicit-def: $vgpr1_vgpr2
                                        ; implicit-def: $vgpr5
.LBB81_29:
	s_andn2_saveexec_b64 s[0:1], s[0:1]
	s_cbranch_execz .LBB81_31
; %bb.30:
	v_mad_u64_u32 v[3:4], s[0:1], s6, 10, v[0:1]
	v_mov_b32_e32 v4, 0
	v_mov_b32_e32 v0, s9
	v_lshlrev_b64 v[3:4], 3, v[3:4]
	v_add_co_u32_e32 v3, vcc, s8, v3
	v_addc_co_u32_e32 v4, vcc, v0, v4, vcc
	global_load_dwordx2 v[7:8], v[3:4], off
	s_waitcnt vmcnt(0)
	v_fmac_f32_e32 v5, v1, v7
	v_fmac_f32_e32 v6, v2, v7
	v_fma_f32 v5, -v2, v8, v5
	v_fmac_f32_e32 v6, v1, v8
	global_store_dwordx2 v[3:4], v[5:6], off
.LBB81_31:
	s_endpgm
	.section	.rodata,"a",@progbits
	.p2align	6, 0x0
	.amdhsa_kernel _ZN9rocsparseL22gebsrmvn_mxn_16_kernelILj40ELj10ELj4E21rocsparse_complex_numIfEEEvi20rocsparse_direction_NS_24const_host_device_scalarIT2_EEPKiS8_PKS5_iiSA_S6_PS5_21rocsparse_index_base_b
		.amdhsa_group_segment_fixed_size 320
		.amdhsa_private_segment_fixed_size 0
		.amdhsa_kernarg_size 80
		.amdhsa_user_sgpr_count 6
		.amdhsa_user_sgpr_private_segment_buffer 1
		.amdhsa_user_sgpr_dispatch_ptr 0
		.amdhsa_user_sgpr_queue_ptr 0
		.amdhsa_user_sgpr_kernarg_segment_ptr 1
		.amdhsa_user_sgpr_dispatch_id 0
		.amdhsa_user_sgpr_flat_scratch_init 0
		.amdhsa_user_sgpr_private_segment_size 0
		.amdhsa_uses_dynamic_stack 0
		.amdhsa_system_sgpr_private_segment_wavefront_offset 0
		.amdhsa_system_sgpr_workgroup_id_x 1
		.amdhsa_system_sgpr_workgroup_id_y 0
		.amdhsa_system_sgpr_workgroup_id_z 0
		.amdhsa_system_sgpr_workgroup_info 0
		.amdhsa_system_vgpr_workitem_id 0
		.amdhsa_next_free_vgpr 17
		.amdhsa_next_free_sgpr 18
		.amdhsa_reserve_vcc 1
		.amdhsa_reserve_flat_scratch 0
		.amdhsa_float_round_mode_32 0
		.amdhsa_float_round_mode_16_64 0
		.amdhsa_float_denorm_mode_32 3
		.amdhsa_float_denorm_mode_16_64 3
		.amdhsa_dx10_clamp 1
		.amdhsa_ieee_mode 1
		.amdhsa_fp16_overflow 0
		.amdhsa_exception_fp_ieee_invalid_op 0
		.amdhsa_exception_fp_denorm_src 0
		.amdhsa_exception_fp_ieee_div_zero 0
		.amdhsa_exception_fp_ieee_overflow 0
		.amdhsa_exception_fp_ieee_underflow 0
		.amdhsa_exception_fp_ieee_inexact 0
		.amdhsa_exception_int_div_zero 0
	.end_amdhsa_kernel
	.section	.text._ZN9rocsparseL22gebsrmvn_mxn_16_kernelILj40ELj10ELj4E21rocsparse_complex_numIfEEEvi20rocsparse_direction_NS_24const_host_device_scalarIT2_EEPKiS8_PKS5_iiSA_S6_PS5_21rocsparse_index_base_b,"axG",@progbits,_ZN9rocsparseL22gebsrmvn_mxn_16_kernelILj40ELj10ELj4E21rocsparse_complex_numIfEEEvi20rocsparse_direction_NS_24const_host_device_scalarIT2_EEPKiS8_PKS5_iiSA_S6_PS5_21rocsparse_index_base_b,comdat
.Lfunc_end81:
	.size	_ZN9rocsparseL22gebsrmvn_mxn_16_kernelILj40ELj10ELj4E21rocsparse_complex_numIfEEEvi20rocsparse_direction_NS_24const_host_device_scalarIT2_EEPKiS8_PKS5_iiSA_S6_PS5_21rocsparse_index_base_b, .Lfunc_end81-_ZN9rocsparseL22gebsrmvn_mxn_16_kernelILj40ELj10ELj4E21rocsparse_complex_numIfEEEvi20rocsparse_direction_NS_24const_host_device_scalarIT2_EEPKiS8_PKS5_iiSA_S6_PS5_21rocsparse_index_base_b
                                        ; -- End function
	.set _ZN9rocsparseL22gebsrmvn_mxn_16_kernelILj40ELj10ELj4E21rocsparse_complex_numIfEEEvi20rocsparse_direction_NS_24const_host_device_scalarIT2_EEPKiS8_PKS5_iiSA_S6_PS5_21rocsparse_index_base_b.num_vgpr, 17
	.set _ZN9rocsparseL22gebsrmvn_mxn_16_kernelILj40ELj10ELj4E21rocsparse_complex_numIfEEEvi20rocsparse_direction_NS_24const_host_device_scalarIT2_EEPKiS8_PKS5_iiSA_S6_PS5_21rocsparse_index_base_b.num_agpr, 0
	.set _ZN9rocsparseL22gebsrmvn_mxn_16_kernelILj40ELj10ELj4E21rocsparse_complex_numIfEEEvi20rocsparse_direction_NS_24const_host_device_scalarIT2_EEPKiS8_PKS5_iiSA_S6_PS5_21rocsparse_index_base_b.numbered_sgpr, 18
	.set _ZN9rocsparseL22gebsrmvn_mxn_16_kernelILj40ELj10ELj4E21rocsparse_complex_numIfEEEvi20rocsparse_direction_NS_24const_host_device_scalarIT2_EEPKiS8_PKS5_iiSA_S6_PS5_21rocsparse_index_base_b.num_named_barrier, 0
	.set _ZN9rocsparseL22gebsrmvn_mxn_16_kernelILj40ELj10ELj4E21rocsparse_complex_numIfEEEvi20rocsparse_direction_NS_24const_host_device_scalarIT2_EEPKiS8_PKS5_iiSA_S6_PS5_21rocsparse_index_base_b.private_seg_size, 0
	.set _ZN9rocsparseL22gebsrmvn_mxn_16_kernelILj40ELj10ELj4E21rocsparse_complex_numIfEEEvi20rocsparse_direction_NS_24const_host_device_scalarIT2_EEPKiS8_PKS5_iiSA_S6_PS5_21rocsparse_index_base_b.uses_vcc, 1
	.set _ZN9rocsparseL22gebsrmvn_mxn_16_kernelILj40ELj10ELj4E21rocsparse_complex_numIfEEEvi20rocsparse_direction_NS_24const_host_device_scalarIT2_EEPKiS8_PKS5_iiSA_S6_PS5_21rocsparse_index_base_b.uses_flat_scratch, 0
	.set _ZN9rocsparseL22gebsrmvn_mxn_16_kernelILj40ELj10ELj4E21rocsparse_complex_numIfEEEvi20rocsparse_direction_NS_24const_host_device_scalarIT2_EEPKiS8_PKS5_iiSA_S6_PS5_21rocsparse_index_base_b.has_dyn_sized_stack, 0
	.set _ZN9rocsparseL22gebsrmvn_mxn_16_kernelILj40ELj10ELj4E21rocsparse_complex_numIfEEEvi20rocsparse_direction_NS_24const_host_device_scalarIT2_EEPKiS8_PKS5_iiSA_S6_PS5_21rocsparse_index_base_b.has_recursion, 0
	.set _ZN9rocsparseL22gebsrmvn_mxn_16_kernelILj40ELj10ELj4E21rocsparse_complex_numIfEEEvi20rocsparse_direction_NS_24const_host_device_scalarIT2_EEPKiS8_PKS5_iiSA_S6_PS5_21rocsparse_index_base_b.has_indirect_call, 0
	.section	.AMDGPU.csdata,"",@progbits
; Kernel info:
; codeLenInByte = 988
; TotalNumSgprs: 22
; NumVgprs: 17
; ScratchSize: 0
; MemoryBound: 0
; FloatMode: 240
; IeeeMode: 1
; LDSByteSize: 320 bytes/workgroup (compile time only)
; SGPRBlocks: 2
; VGPRBlocks: 4
; NumSGPRsForWavesPerEU: 22
; NumVGPRsForWavesPerEU: 17
; Occupancy: 10
; WaveLimiterHint : 1
; COMPUTE_PGM_RSRC2:SCRATCH_EN: 0
; COMPUTE_PGM_RSRC2:USER_SGPR: 6
; COMPUTE_PGM_RSRC2:TRAP_HANDLER: 0
; COMPUTE_PGM_RSRC2:TGID_X_EN: 1
; COMPUTE_PGM_RSRC2:TGID_Y_EN: 0
; COMPUTE_PGM_RSRC2:TGID_Z_EN: 0
; COMPUTE_PGM_RSRC2:TIDIG_COMP_CNT: 0
	.section	.text._ZN9rocsparseL22gebsrmvn_mxn_16_kernelILj50ELj10ELj5E21rocsparse_complex_numIfEEEvi20rocsparse_direction_NS_24const_host_device_scalarIT2_EEPKiS8_PKS5_iiSA_S6_PS5_21rocsparse_index_base_b,"axG",@progbits,_ZN9rocsparseL22gebsrmvn_mxn_16_kernelILj50ELj10ELj5E21rocsparse_complex_numIfEEEvi20rocsparse_direction_NS_24const_host_device_scalarIT2_EEPKiS8_PKS5_iiSA_S6_PS5_21rocsparse_index_base_b,comdat
	.globl	_ZN9rocsparseL22gebsrmvn_mxn_16_kernelILj50ELj10ELj5E21rocsparse_complex_numIfEEEvi20rocsparse_direction_NS_24const_host_device_scalarIT2_EEPKiS8_PKS5_iiSA_S6_PS5_21rocsparse_index_base_b ; -- Begin function _ZN9rocsparseL22gebsrmvn_mxn_16_kernelILj50ELj10ELj5E21rocsparse_complex_numIfEEEvi20rocsparse_direction_NS_24const_host_device_scalarIT2_EEPKiS8_PKS5_iiSA_S6_PS5_21rocsparse_index_base_b
	.p2align	8
	.type	_ZN9rocsparseL22gebsrmvn_mxn_16_kernelILj50ELj10ELj5E21rocsparse_complex_numIfEEEvi20rocsparse_direction_NS_24const_host_device_scalarIT2_EEPKiS8_PKS5_iiSA_S6_PS5_21rocsparse_index_base_b,@function
_ZN9rocsparseL22gebsrmvn_mxn_16_kernelILj50ELj10ELj5E21rocsparse_complex_numIfEEEvi20rocsparse_direction_NS_24const_host_device_scalarIT2_EEPKiS8_PKS5_iiSA_S6_PS5_21rocsparse_index_base_b: ; @_ZN9rocsparseL22gebsrmvn_mxn_16_kernelILj50ELj10ELj5E21rocsparse_complex_numIfEEEvi20rocsparse_direction_NS_24const_host_device_scalarIT2_EEPKiS8_PKS5_iiSA_S6_PS5_21rocsparse_index_base_b
; %bb.0:
	s_load_dwordx2 s[0:1], s[4:5], 0x8
	s_load_dwordx2 s[2:3], s[4:5], 0x38
	;; [unrolled: 1-line block ×3, first 2 shown]
	s_add_u32 s7, s4, 8
	s_addc_u32 s8, s5, 0
	s_add_u32 s9, s4, 56
	s_addc_u32 s12, s5, 0
	s_waitcnt lgkmcnt(0)
	s_bitcmp1_b32 s11, 0
	s_cselect_b32 s1, s8, s1
	s_cselect_b32 s0, s7, s0
	v_mov_b32_e32 v1, s0
	v_mov_b32_e32 v2, s1
	flat_load_dwordx2 v[3:4], v[1:2]
	s_cselect_b32 s0, s12, s3
	s_cselect_b32 s1, s9, s2
	v_mov_b32_e32 v1, s1
	v_mov_b32_e32 v2, s0
	flat_load_dwordx2 v[1:2], v[1:2]
	s_waitcnt vmcnt(0) lgkmcnt(0)
	v_cmp_eq_f32_e32 vcc, 0, v3
	v_cmp_eq_f32_e64 s[0:1], 0, v4
	s_and_b64 s[8:9], vcc, s[0:1]
	s_mov_b64 s[0:1], -1
	s_and_saveexec_b64 s[2:3], s[8:9]
; %bb.1:
	v_cmp_neq_f32_e32 vcc, 1.0, v1
	v_cmp_neq_f32_e64 s[0:1], 0, v2
	s_or_b64 s[0:1], vcc, s[0:1]
	s_orn2_b64 s[0:1], s[0:1], exec
; %bb.2:
	s_or_b64 exec, exec, s[2:3]
	s_and_saveexec_b64 s[2:3], s[0:1]
	s_cbranch_execz .LBB82_35
; %bb.3:
	s_load_dwordx2 s[0:1], s[4:5], 0x10
	s_load_dword s2, s[4:5], 0x4
	v_mul_u32_u24_e32 v6, 0x3334, v0
	v_mov_b32_e32 v5, 5
	v_mul_lo_u16_sdwa v6, v6, v5 dst_sel:DWORD dst_unused:UNUSED_PAD src0_sel:WORD_1 src1_sel:DWORD
	v_sub_u16_e32 v12, v0, v6
	s_waitcnt lgkmcnt(0)
	s_cmp_lg_u32 s2, 1
	s_cselect_b64 s[12:13], -1, 0
	s_and_b64 vcc, exec, s[12:13]
	v_mov_b32_e32 v7, v12
	s_cbranch_vccnz .LBB82_5
; %bb.4:
	s_movk_i32 s2, 0x199a
	v_mul_u32_u24_sdwa v6, v0, s2 dst_sel:DWORD dst_unused:UNUSED_PAD src0_sel:WORD_0 src1_sel:DWORD
	v_mov_b32_e32 v7, 52
	v_mul_lo_u16_sdwa v7, v6, v7 dst_sel:DWORD dst_unused:UNUSED_PAD src0_sel:WORD_1 src1_sel:DWORD
	v_mul_lo_u16_sdwa v5, v7, v5 dst_sel:DWORD dst_unused:UNUSED_PAD src0_sel:BYTE_1 src1_sel:DWORD
	v_sub_u16_sdwa v5, v6, v5 dst_sel:DWORD dst_unused:UNUSED_PAD src0_sel:WORD_1 src1_sel:DWORD
	v_and_b32_e32 v7, 0xff, v5
.LBB82_5:
	s_ashr_i32 s7, s6, 31
	s_lshl_b64 s[2:3], s[6:7], 2
	s_add_u32 s0, s0, s2
	s_addc_u32 s1, s1, s3
	s_load_dwordx2 s[16:17], s[0:1], 0x0
	s_load_dwordx2 s[8:9], s[4:5], 0x40
	v_mov_b32_e32 v6, 0
	v_mov_b32_e32 v5, 0
	s_waitcnt lgkmcnt(0)
	s_cmp_ge_i32 s16, s17
	s_cbranch_scc1 .LBB82_10
; %bb.6:
	s_load_dwordx4 s[0:3], s[4:5], 0x18
	s_load_dwordx2 s[14:15], s[4:5], 0x30
	v_mad_u64_u32 v[5:6], s[4:5], s16, 50, v[0:1]
	s_movk_i32 s4, 0x51f
	v_mul_u32_u24_sdwa v13, v0, s4 dst_sel:DWORD dst_unused:UNUSED_PAD src0_sel:WORD_0 src1_sel:DWORD
	s_mul_i32 s4, s10, 50
	v_mov_b32_e32 v9, 0
	s_sub_i32 s7, s17, s10
	s_sub_i32 s11, s16, s10
	v_subrev_u32_e32 v8, s4, v5
	v_mov_b32_e32 v6, v9
	v_mov_b32_e32 v5, v9
	s_branch .LBB82_8
.LBB82_7:                               ;   in Loop: Header=BB82_8 Depth=1
	s_or_b64 exec, exec, s[4:5]
	s_add_i32 s11, s11, 1
	s_cmp_ge_i32 s11, s7
	v_add_u32_e32 v8, 50, v8
	s_cbranch_scc1 .LBB82_10
.LBB82_8:                               ; =>This Inner Loop Header: Depth=1
	v_add_u32_sdwa v10, v13, s11 dst_sel:DWORD dst_unused:UNUSED_PAD src0_sel:WORD_1 src1_sel:DWORD
	v_cmp_gt_i32_e32 vcc, s7, v10
	s_and_saveexec_b64 s[4:5], vcc
	s_cbranch_execz .LBB82_7
; %bb.9:                                ;   in Loop: Header=BB82_8 Depth=1
	v_ashrrev_i32_e32 v11, 31, v10
	v_lshlrev_b64 v[10:11], 2, v[10:11]
	s_waitcnt lgkmcnt(0)
	v_mov_b32_e32 v14, s1
	v_add_co_u32_e32 v10, vcc, s0, v10
	v_addc_co_u32_e32 v11, vcc, v14, v11, vcc
	global_load_dword v14, v[10:11], off
	v_lshlrev_b64 v[10:11], 3, v[8:9]
	v_mov_b32_e32 v16, s3
	v_add_co_u32_e32 v10, vcc, s2, v10
	v_addc_co_u32_e32 v11, vcc, v16, v11, vcc
	v_mov_b32_e32 v17, s15
	global_load_dwordx2 v[10:11], v[10:11], off
	s_waitcnt vmcnt(1)
	v_subrev_u32_e32 v14, s10, v14
	v_mad_u64_u32 v[14:15], s[16:17], v14, 5, v[7:8]
	v_ashrrev_i32_e32 v15, 31, v14
	v_lshlrev_b64 v[14:15], 3, v[14:15]
	v_add_co_u32_e32 v14, vcc, s14, v14
	v_addc_co_u32_e32 v15, vcc, v17, v15, vcc
	global_load_dwordx2 v[14:15], v[14:15], off
	s_waitcnt vmcnt(0)
	v_fmac_f32_e32 v5, v10, v14
	v_fmac_f32_e32 v6, v11, v14
	v_fma_f32 v5, -v11, v15, v5
	v_fmac_f32_e32 v6, v10, v15
	s_branch .LBB82_7
.LBB82_10:
	v_lshlrev_b32_e32 v9, 3, v0
	s_and_b64 vcc, exec, s[12:13]
	ds_write_b64 v9, v[5:6]
	s_waitcnt lgkmcnt(0)
	; wave barrier
	s_cbranch_vccz .LBB82_20
; %bb.11:
	v_cmp_eq_u16_e32 vcc, 0, v12
	s_and_saveexec_b64 s[0:1], vcc
	s_cbranch_execz .LBB82_13
; %bb.12:
	ds_read2_b64 v[13:16], v9 offset1:4
	s_waitcnt lgkmcnt(0)
	v_add_f32_e32 v7, v15, v13
	v_add_f32_e32 v8, v16, v14
	ds_write_b64 v9, v[7:8]
.LBB82_13:
	s_or_b64 exec, exec, s[0:1]
	v_cmp_gt_u16_e64 s[0:1], 2, v12
	s_waitcnt lgkmcnt(0)
	; wave barrier
	s_and_saveexec_b64 s[2:3], s[0:1]
	s_cbranch_execz .LBB82_15
; %bb.14:
	ds_read2_b64 v[10:13], v9 offset1:2
	s_waitcnt lgkmcnt(0)
	v_add_f32_e32 v7, v12, v10
	v_add_f32_e32 v8, v13, v11
	ds_write_b64 v9, v[7:8]
.LBB82_15:
	s_or_b64 exec, exec, s[2:3]
	s_waitcnt lgkmcnt(0)
	; wave barrier
	s_and_saveexec_b64 s[0:1], vcc
	s_cbranch_execz .LBB82_17
; %bb.16:
	ds_read2_b64 v[10:13], v9 offset1:1
	s_waitcnt lgkmcnt(0)
	v_add_f32_e32 v7, v12, v10
	v_add_f32_e32 v8, v13, v11
	ds_write_b64 v9, v[7:8]
.LBB82_17:
	s_or_b64 exec, exec, s[0:1]
	v_cmp_gt_u32_e32 vcc, 10, v0
	v_mov_b32_e32 v8, v6
	v_mov_b32_e32 v7, v5
	s_waitcnt lgkmcnt(0)
	; wave barrier
	s_and_saveexec_b64 s[0:1], vcc
; %bb.18:
	v_lshl_add_u32 v7, v0, 5, v9
	ds_read_b64 v[7:8], v7
; %bb.19:
	s_or_b64 exec, exec, s[0:1]
	v_cmp_gt_u32_e64 s[0:1], 10, v0
	s_branch .LBB82_30
.LBB82_20:
                                        ; implicit-def: $vgpr8
	v_cmp_gt_u32_e64 s[0:1], 10, v0
	s_cbranch_execz .LBB82_30
; %bb.21:
	v_cmp_lt_u32_e32 vcc, 9, v0
	s_and_saveexec_b64 s[2:3], s[0:1]
	s_cbranch_execz .LBB82_23
; %bb.22:
	ds_read2_b64 v[10:13], v9 offset1:40
	s_waitcnt lgkmcnt(0)
	v_add_f32_e32 v7, v12, v10
	v_add_f32_e32 v8, v13, v11
	ds_write_b64 v9, v[7:8]
.LBB82_23:
	s_or_b64 exec, exec, s[2:3]
	v_cmp_gt_u32_e64 s[0:1], 20, v0
	s_waitcnt lgkmcnt(0)
	; wave barrier
	s_and_saveexec_b64 s[2:3], s[0:1]
	s_cbranch_execz .LBB82_25
; %bb.24:
	ds_read2_b64 v[10:13], v9 offset1:20
	s_waitcnt lgkmcnt(0)
	v_add_f32_e32 v7, v12, v10
	v_add_f32_e32 v8, v13, v11
	ds_write_b64 v9, v[7:8]
.LBB82_25:
	s_or_b64 exec, exec, s[2:3]
	s_waitcnt lgkmcnt(0)
	s_and_saveexec_b64 s[0:1], vcc
	s_xor_b64 s[0:1], exec, s[0:1]
; %bb.26:
                                        ; implicit-def: $vgpr9
; %bb.27:
	s_andn2_saveexec_b64 s[0:1], s[0:1]
	s_cbranch_execz .LBB82_29
; %bb.28:
	ds_read2_b64 v[5:8], v9 offset1:10
	s_waitcnt lgkmcnt(0)
	v_add_f32_e32 v5, v7, v5
	v_add_f32_e32 v6, v8, v6
	ds_write_b64 v9, v[5:6]
	s_waitcnt lgkmcnt(0)
	ds_read_b64 v[5:6], v9
.LBB82_29:
	s_or_b64 exec, exec, s[0:1]
	s_waitcnt lgkmcnt(0)
	v_mov_b32_e32 v8, v6
	v_mov_b32_e32 v7, v5
.LBB82_30:
	v_cmp_gt_u32_e32 vcc, 10, v0
	s_and_b64 exec, exec, vcc
	s_cbranch_execz .LBB82_35
; %bb.31:
	v_cmp_eq_f32_e32 vcc, 0, v1
	v_cmp_eq_f32_e64 s[0:1], 0, v2
	s_waitcnt lgkmcnt(0)
	v_mul_f32_e64 v5, v8, -v4
	v_mul_f32_e32 v6, v3, v8
	s_and_b64 s[0:1], vcc, s[0:1]
	v_fmac_f32_e32 v5, v3, v7
	v_fmac_f32_e32 v6, v4, v7
	s_and_saveexec_b64 s[2:3], s[0:1]
	s_xor_b64 s[0:1], exec, s[2:3]
	s_cbranch_execz .LBB82_33
; %bb.32:
	v_mad_u64_u32 v[0:1], s[2:3], s6, 10, v[0:1]
	v_mov_b32_e32 v1, 0
	v_mov_b32_e32 v2, s9
	v_lshlrev_b64 v[0:1], 3, v[0:1]
	v_add_co_u32_e32 v0, vcc, s8, v0
	v_addc_co_u32_e32 v1, vcc, v2, v1, vcc
	global_store_dwordx2 v[0:1], v[5:6], off
                                        ; implicit-def: $vgpr0
                                        ; implicit-def: $vgpr1_vgpr2
                                        ; implicit-def: $vgpr5
.LBB82_33:
	s_andn2_saveexec_b64 s[0:1], s[0:1]
	s_cbranch_execz .LBB82_35
; %bb.34:
	v_mad_u64_u32 v[3:4], s[0:1], s6, 10, v[0:1]
	v_mov_b32_e32 v4, 0
	v_mov_b32_e32 v0, s9
	v_lshlrev_b64 v[3:4], 3, v[3:4]
	v_add_co_u32_e32 v3, vcc, s8, v3
	v_addc_co_u32_e32 v4, vcc, v0, v4, vcc
	global_load_dwordx2 v[7:8], v[3:4], off
	s_waitcnt vmcnt(0)
	v_fmac_f32_e32 v5, v1, v7
	v_fmac_f32_e32 v6, v2, v7
	v_fma_f32 v5, -v2, v8, v5
	v_fmac_f32_e32 v6, v1, v8
	global_store_dwordx2 v[3:4], v[5:6], off
.LBB82_35:
	s_endpgm
	.section	.rodata,"a",@progbits
	.p2align	6, 0x0
	.amdhsa_kernel _ZN9rocsparseL22gebsrmvn_mxn_16_kernelILj50ELj10ELj5E21rocsparse_complex_numIfEEEvi20rocsparse_direction_NS_24const_host_device_scalarIT2_EEPKiS8_PKS5_iiSA_S6_PS5_21rocsparse_index_base_b
		.amdhsa_group_segment_fixed_size 400
		.amdhsa_private_segment_fixed_size 0
		.amdhsa_kernarg_size 80
		.amdhsa_user_sgpr_count 6
		.amdhsa_user_sgpr_private_segment_buffer 1
		.amdhsa_user_sgpr_dispatch_ptr 0
		.amdhsa_user_sgpr_queue_ptr 0
		.amdhsa_user_sgpr_kernarg_segment_ptr 1
		.amdhsa_user_sgpr_dispatch_id 0
		.amdhsa_user_sgpr_flat_scratch_init 0
		.amdhsa_user_sgpr_private_segment_size 0
		.amdhsa_uses_dynamic_stack 0
		.amdhsa_system_sgpr_private_segment_wavefront_offset 0
		.amdhsa_system_sgpr_workgroup_id_x 1
		.amdhsa_system_sgpr_workgroup_id_y 0
		.amdhsa_system_sgpr_workgroup_id_z 0
		.amdhsa_system_sgpr_workgroup_info 0
		.amdhsa_system_vgpr_workitem_id 0
		.amdhsa_next_free_vgpr 18
		.amdhsa_next_free_sgpr 18
		.amdhsa_reserve_vcc 1
		.amdhsa_reserve_flat_scratch 0
		.amdhsa_float_round_mode_32 0
		.amdhsa_float_round_mode_16_64 0
		.amdhsa_float_denorm_mode_32 3
		.amdhsa_float_denorm_mode_16_64 3
		.amdhsa_dx10_clamp 1
		.amdhsa_ieee_mode 1
		.amdhsa_fp16_overflow 0
		.amdhsa_exception_fp_ieee_invalid_op 0
		.amdhsa_exception_fp_denorm_src 0
		.amdhsa_exception_fp_ieee_div_zero 0
		.amdhsa_exception_fp_ieee_overflow 0
		.amdhsa_exception_fp_ieee_underflow 0
		.amdhsa_exception_fp_ieee_inexact 0
		.amdhsa_exception_int_div_zero 0
	.end_amdhsa_kernel
	.section	.text._ZN9rocsparseL22gebsrmvn_mxn_16_kernelILj50ELj10ELj5E21rocsparse_complex_numIfEEEvi20rocsparse_direction_NS_24const_host_device_scalarIT2_EEPKiS8_PKS5_iiSA_S6_PS5_21rocsparse_index_base_b,"axG",@progbits,_ZN9rocsparseL22gebsrmvn_mxn_16_kernelILj50ELj10ELj5E21rocsparse_complex_numIfEEEvi20rocsparse_direction_NS_24const_host_device_scalarIT2_EEPKiS8_PKS5_iiSA_S6_PS5_21rocsparse_index_base_b,comdat
.Lfunc_end82:
	.size	_ZN9rocsparseL22gebsrmvn_mxn_16_kernelILj50ELj10ELj5E21rocsparse_complex_numIfEEEvi20rocsparse_direction_NS_24const_host_device_scalarIT2_EEPKiS8_PKS5_iiSA_S6_PS5_21rocsparse_index_base_b, .Lfunc_end82-_ZN9rocsparseL22gebsrmvn_mxn_16_kernelILj50ELj10ELj5E21rocsparse_complex_numIfEEEvi20rocsparse_direction_NS_24const_host_device_scalarIT2_EEPKiS8_PKS5_iiSA_S6_PS5_21rocsparse_index_base_b
                                        ; -- End function
	.set _ZN9rocsparseL22gebsrmvn_mxn_16_kernelILj50ELj10ELj5E21rocsparse_complex_numIfEEEvi20rocsparse_direction_NS_24const_host_device_scalarIT2_EEPKiS8_PKS5_iiSA_S6_PS5_21rocsparse_index_base_b.num_vgpr, 18
	.set _ZN9rocsparseL22gebsrmvn_mxn_16_kernelILj50ELj10ELj5E21rocsparse_complex_numIfEEEvi20rocsparse_direction_NS_24const_host_device_scalarIT2_EEPKiS8_PKS5_iiSA_S6_PS5_21rocsparse_index_base_b.num_agpr, 0
	.set _ZN9rocsparseL22gebsrmvn_mxn_16_kernelILj50ELj10ELj5E21rocsparse_complex_numIfEEEvi20rocsparse_direction_NS_24const_host_device_scalarIT2_EEPKiS8_PKS5_iiSA_S6_PS5_21rocsparse_index_base_b.numbered_sgpr, 18
	.set _ZN9rocsparseL22gebsrmvn_mxn_16_kernelILj50ELj10ELj5E21rocsparse_complex_numIfEEEvi20rocsparse_direction_NS_24const_host_device_scalarIT2_EEPKiS8_PKS5_iiSA_S6_PS5_21rocsparse_index_base_b.num_named_barrier, 0
	.set _ZN9rocsparseL22gebsrmvn_mxn_16_kernelILj50ELj10ELj5E21rocsparse_complex_numIfEEEvi20rocsparse_direction_NS_24const_host_device_scalarIT2_EEPKiS8_PKS5_iiSA_S6_PS5_21rocsparse_index_base_b.private_seg_size, 0
	.set _ZN9rocsparseL22gebsrmvn_mxn_16_kernelILj50ELj10ELj5E21rocsparse_complex_numIfEEEvi20rocsparse_direction_NS_24const_host_device_scalarIT2_EEPKiS8_PKS5_iiSA_S6_PS5_21rocsparse_index_base_b.uses_vcc, 1
	.set _ZN9rocsparseL22gebsrmvn_mxn_16_kernelILj50ELj10ELj5E21rocsparse_complex_numIfEEEvi20rocsparse_direction_NS_24const_host_device_scalarIT2_EEPKiS8_PKS5_iiSA_S6_PS5_21rocsparse_index_base_b.uses_flat_scratch, 0
	.set _ZN9rocsparseL22gebsrmvn_mxn_16_kernelILj50ELj10ELj5E21rocsparse_complex_numIfEEEvi20rocsparse_direction_NS_24const_host_device_scalarIT2_EEPKiS8_PKS5_iiSA_S6_PS5_21rocsparse_index_base_b.has_dyn_sized_stack, 0
	.set _ZN9rocsparseL22gebsrmvn_mxn_16_kernelILj50ELj10ELj5E21rocsparse_complex_numIfEEEvi20rocsparse_direction_NS_24const_host_device_scalarIT2_EEPKiS8_PKS5_iiSA_S6_PS5_21rocsparse_index_base_b.has_recursion, 0
	.set _ZN9rocsparseL22gebsrmvn_mxn_16_kernelILj50ELj10ELj5E21rocsparse_complex_numIfEEEvi20rocsparse_direction_NS_24const_host_device_scalarIT2_EEPKiS8_PKS5_iiSA_S6_PS5_21rocsparse_index_base_b.has_indirect_call, 0
	.section	.AMDGPU.csdata,"",@progbits
; Kernel info:
; codeLenInByte = 1156
; TotalNumSgprs: 22
; NumVgprs: 18
; ScratchSize: 0
; MemoryBound: 0
; FloatMode: 240
; IeeeMode: 1
; LDSByteSize: 400 bytes/workgroup (compile time only)
; SGPRBlocks: 2
; VGPRBlocks: 4
; NumSGPRsForWavesPerEU: 22
; NumVGPRsForWavesPerEU: 18
; Occupancy: 10
; WaveLimiterHint : 1
; COMPUTE_PGM_RSRC2:SCRATCH_EN: 0
; COMPUTE_PGM_RSRC2:USER_SGPR: 6
; COMPUTE_PGM_RSRC2:TRAP_HANDLER: 0
; COMPUTE_PGM_RSRC2:TGID_X_EN: 1
; COMPUTE_PGM_RSRC2:TGID_Y_EN: 0
; COMPUTE_PGM_RSRC2:TGID_Z_EN: 0
; COMPUTE_PGM_RSRC2:TIDIG_COMP_CNT: 0
	.section	.text._ZN9rocsparseL22gebsrmvn_mxn_16_kernelILj60ELj10ELj6E21rocsparse_complex_numIfEEEvi20rocsparse_direction_NS_24const_host_device_scalarIT2_EEPKiS8_PKS5_iiSA_S6_PS5_21rocsparse_index_base_b,"axG",@progbits,_ZN9rocsparseL22gebsrmvn_mxn_16_kernelILj60ELj10ELj6E21rocsparse_complex_numIfEEEvi20rocsparse_direction_NS_24const_host_device_scalarIT2_EEPKiS8_PKS5_iiSA_S6_PS5_21rocsparse_index_base_b,comdat
	.globl	_ZN9rocsparseL22gebsrmvn_mxn_16_kernelILj60ELj10ELj6E21rocsparse_complex_numIfEEEvi20rocsparse_direction_NS_24const_host_device_scalarIT2_EEPKiS8_PKS5_iiSA_S6_PS5_21rocsparse_index_base_b ; -- Begin function _ZN9rocsparseL22gebsrmvn_mxn_16_kernelILj60ELj10ELj6E21rocsparse_complex_numIfEEEvi20rocsparse_direction_NS_24const_host_device_scalarIT2_EEPKiS8_PKS5_iiSA_S6_PS5_21rocsparse_index_base_b
	.p2align	8
	.type	_ZN9rocsparseL22gebsrmvn_mxn_16_kernelILj60ELj10ELj6E21rocsparse_complex_numIfEEEvi20rocsparse_direction_NS_24const_host_device_scalarIT2_EEPKiS8_PKS5_iiSA_S6_PS5_21rocsparse_index_base_b,@function
_ZN9rocsparseL22gebsrmvn_mxn_16_kernelILj60ELj10ELj6E21rocsparse_complex_numIfEEEvi20rocsparse_direction_NS_24const_host_device_scalarIT2_EEPKiS8_PKS5_iiSA_S6_PS5_21rocsparse_index_base_b: ; @_ZN9rocsparseL22gebsrmvn_mxn_16_kernelILj60ELj10ELj6E21rocsparse_complex_numIfEEEvi20rocsparse_direction_NS_24const_host_device_scalarIT2_EEPKiS8_PKS5_iiSA_S6_PS5_21rocsparse_index_base_b
; %bb.0:
	s_load_dwordx2 s[0:1], s[4:5], 0x8
	s_load_dwordx2 s[2:3], s[4:5], 0x38
	s_load_dwordx2 s[10:11], s[4:5], 0x48
	s_add_u32 s7, s4, 8
	s_addc_u32 s8, s5, 0
	s_add_u32 s9, s4, 56
	s_addc_u32 s12, s5, 0
	s_waitcnt lgkmcnt(0)
	s_bitcmp1_b32 s11, 0
	s_cselect_b32 s1, s8, s1
	s_cselect_b32 s0, s7, s0
	v_mov_b32_e32 v1, s0
	v_mov_b32_e32 v2, s1
	flat_load_dwordx2 v[3:4], v[1:2]
	s_cselect_b32 s0, s12, s3
	s_cselect_b32 s1, s9, s2
	v_mov_b32_e32 v1, s1
	v_mov_b32_e32 v2, s0
	flat_load_dwordx2 v[1:2], v[1:2]
	s_waitcnt vmcnt(0) lgkmcnt(0)
	v_cmp_eq_f32_e32 vcc, 0, v3
	v_cmp_eq_f32_e64 s[0:1], 0, v4
	s_and_b64 s[8:9], vcc, s[0:1]
	s_mov_b64 s[0:1], -1
	s_and_saveexec_b64 s[2:3], s[8:9]
; %bb.1:
	v_cmp_neq_f32_e32 vcc, 1.0, v1
	v_cmp_neq_f32_e64 s[0:1], 0, v2
	s_or_b64 s[0:1], vcc, s[0:1]
	s_orn2_b64 s[0:1], s[0:1], exec
; %bb.2:
	s_or_b64 exec, exec, s[2:3]
	s_and_saveexec_b64 s[2:3], s[0:1]
	s_cbranch_execz .LBB83_35
; %bb.3:
	s_load_dwordx2 s[0:1], s[4:5], 0x10
	s_load_dword s2, s[4:5], 0x4
	v_mul_u32_u24_e32 v6, 0x2aab, v0
	v_mov_b32_e32 v5, 6
	v_mul_lo_u16_sdwa v6, v6, v5 dst_sel:DWORD dst_unused:UNUSED_PAD src0_sel:WORD_1 src1_sel:DWORD
	v_sub_u16_e32 v12, v0, v6
	s_waitcnt lgkmcnt(0)
	s_cmp_lg_u32 s2, 1
	s_cselect_b64 s[12:13], -1, 0
	s_and_b64 vcc, exec, s[12:13]
	v_mov_b32_e32 v7, v12
	s_cbranch_vccnz .LBB83_5
; %bb.4:
	s_movk_i32 s2, 0x199a
	v_mul_u32_u24_sdwa v6, v0, s2 dst_sel:DWORD dst_unused:UNUSED_PAD src0_sel:WORD_0 src1_sel:DWORD
	v_mov_b32_e32 v7, 43
	v_mul_lo_u16_sdwa v7, v6, v7 dst_sel:DWORD dst_unused:UNUSED_PAD src0_sel:WORD_1 src1_sel:DWORD
	v_mul_lo_u16_sdwa v5, v7, v5 dst_sel:DWORD dst_unused:UNUSED_PAD src0_sel:BYTE_1 src1_sel:DWORD
	v_sub_u16_sdwa v5, v6, v5 dst_sel:DWORD dst_unused:UNUSED_PAD src0_sel:WORD_1 src1_sel:DWORD
	v_and_b32_e32 v7, 0xff, v5
.LBB83_5:
	s_ashr_i32 s7, s6, 31
	s_lshl_b64 s[2:3], s[6:7], 2
	s_add_u32 s0, s0, s2
	s_addc_u32 s1, s1, s3
	s_load_dwordx2 s[16:17], s[0:1], 0x0
	s_load_dwordx2 s[8:9], s[4:5], 0x40
	v_mov_b32_e32 v6, 0
	v_mov_b32_e32 v5, 0
	s_waitcnt lgkmcnt(0)
	s_cmp_ge_i32 s16, s17
	s_cbranch_scc1 .LBB83_10
; %bb.6:
	s_load_dwordx4 s[0:3], s[4:5], 0x18
	s_load_dwordx2 s[14:15], s[4:5], 0x30
	v_mad_u64_u32 v[5:6], s[4:5], s16, 60, v[0:1]
	s_movk_i32 s4, 0x445
	v_mul_u32_u24_sdwa v13, v0, s4 dst_sel:DWORD dst_unused:UNUSED_PAD src0_sel:WORD_0 src1_sel:DWORD
	s_mul_i32 s4, s10, 60
	v_mov_b32_e32 v9, 0
	s_sub_i32 s7, s17, s10
	s_sub_i32 s11, s16, s10
	v_subrev_u32_e32 v8, s4, v5
	v_mov_b32_e32 v6, v9
	v_mov_b32_e32 v5, v9
	s_branch .LBB83_8
.LBB83_7:                               ;   in Loop: Header=BB83_8 Depth=1
	s_or_b64 exec, exec, s[4:5]
	s_add_i32 s11, s11, 1
	s_cmp_ge_i32 s11, s7
	v_add_u32_e32 v8, 60, v8
	s_cbranch_scc1 .LBB83_10
.LBB83_8:                               ; =>This Inner Loop Header: Depth=1
	v_add_u32_sdwa v10, v13, s11 dst_sel:DWORD dst_unused:UNUSED_PAD src0_sel:WORD_1 src1_sel:DWORD
	v_cmp_gt_i32_e32 vcc, s7, v10
	s_and_saveexec_b64 s[4:5], vcc
	s_cbranch_execz .LBB83_7
; %bb.9:                                ;   in Loop: Header=BB83_8 Depth=1
	v_ashrrev_i32_e32 v11, 31, v10
	v_lshlrev_b64 v[10:11], 2, v[10:11]
	s_waitcnt lgkmcnt(0)
	v_mov_b32_e32 v14, s1
	v_add_co_u32_e32 v10, vcc, s0, v10
	v_addc_co_u32_e32 v11, vcc, v14, v11, vcc
	global_load_dword v14, v[10:11], off
	v_lshlrev_b64 v[10:11], 3, v[8:9]
	v_mov_b32_e32 v16, s3
	v_add_co_u32_e32 v10, vcc, s2, v10
	v_addc_co_u32_e32 v11, vcc, v16, v11, vcc
	v_mov_b32_e32 v17, s15
	global_load_dwordx2 v[10:11], v[10:11], off
	s_waitcnt vmcnt(1)
	v_subrev_u32_e32 v14, s10, v14
	v_mad_u64_u32 v[14:15], s[16:17], v14, 6, v[7:8]
	v_ashrrev_i32_e32 v15, 31, v14
	v_lshlrev_b64 v[14:15], 3, v[14:15]
	v_add_co_u32_e32 v14, vcc, s14, v14
	v_addc_co_u32_e32 v15, vcc, v17, v15, vcc
	global_load_dwordx2 v[14:15], v[14:15], off
	s_waitcnt vmcnt(0)
	v_fmac_f32_e32 v5, v10, v14
	v_fmac_f32_e32 v6, v11, v14
	v_fma_f32 v5, -v11, v15, v5
	v_fmac_f32_e32 v6, v10, v15
	s_branch .LBB83_7
.LBB83_10:
	v_lshlrev_b32_e32 v9, 3, v0
	s_and_b64 vcc, exec, s[12:13]
	ds_write_b64 v9, v[5:6]
	s_waitcnt lgkmcnt(0)
	; wave barrier
	s_cbranch_vccz .LBB83_20
; %bb.11:
	v_cmp_gt_u16_e32 vcc, 2, v12
	s_and_saveexec_b64 s[0:1], vcc
	s_cbranch_execz .LBB83_13
; %bb.12:
	ds_read2_b64 v[13:16], v9 offset1:4
	s_waitcnt lgkmcnt(0)
	v_add_f32_e32 v7, v15, v13
	v_add_f32_e32 v8, v16, v14
	ds_write_b64 v9, v[7:8]
.LBB83_13:
	s_or_b64 exec, exec, s[0:1]
	s_waitcnt lgkmcnt(0)
	; wave barrier
	s_and_saveexec_b64 s[0:1], vcc
	s_cbranch_execz .LBB83_15
; %bb.14:
	ds_read2_b64 v[13:16], v9 offset1:2
	s_waitcnt lgkmcnt(0)
	v_add_f32_e32 v7, v15, v13
	v_add_f32_e32 v8, v16, v14
	ds_write_b64 v9, v[7:8]
.LBB83_15:
	s_or_b64 exec, exec, s[0:1]
	v_cmp_eq_u16_e32 vcc, 0, v12
	s_waitcnt lgkmcnt(0)
	; wave barrier
	s_and_saveexec_b64 s[0:1], vcc
	s_cbranch_execz .LBB83_17
; %bb.16:
	ds_read2_b64 v[10:13], v9 offset1:1
	s_waitcnt lgkmcnt(0)
	v_add_f32_e32 v7, v12, v10
	v_add_f32_e32 v8, v13, v11
	ds_write_b64 v9, v[7:8]
.LBB83_17:
	s_or_b64 exec, exec, s[0:1]
	v_cmp_gt_u32_e32 vcc, 10, v0
	v_mov_b32_e32 v8, v6
	v_mov_b32_e32 v7, v5
	s_waitcnt lgkmcnt(0)
	; wave barrier
	s_and_saveexec_b64 s[0:1], vcc
; %bb.18:
	v_mad_u32_u24 v7, v0, 40, v9
	ds_read_b64 v[7:8], v7
; %bb.19:
	s_or_b64 exec, exec, s[0:1]
	s_branch .LBB83_30
.LBB83_20:
                                        ; implicit-def: $vgpr8
	s_cbranch_execz .LBB83_30
; %bb.21:
	v_cmp_gt_u32_e32 vcc, 20, v0
	s_and_saveexec_b64 s[0:1], vcc
	s_cbranch_execz .LBB83_23
; %bb.22:
	ds_read2_b64 v[10:13], v9 offset1:40
	s_waitcnt lgkmcnt(0)
	v_add_f32_e32 v7, v12, v10
	v_add_f32_e32 v8, v13, v11
	ds_write_b64 v9, v[7:8]
.LBB83_23:
	s_or_b64 exec, exec, s[0:1]
	s_waitcnt lgkmcnt(0)
	; wave barrier
	s_and_saveexec_b64 s[0:1], vcc
	s_cbranch_execz .LBB83_25
; %bb.24:
	ds_read2_b64 v[10:13], v9 offset1:20
	s_waitcnt lgkmcnt(0)
	v_add_f32_e32 v7, v12, v10
	v_add_f32_e32 v8, v13, v11
	ds_write_b64 v9, v[7:8]
.LBB83_25:
	s_or_b64 exec, exec, s[0:1]
	v_cmp_lt_u32_e32 vcc, 9, v0
	s_waitcnt lgkmcnt(0)
	s_and_saveexec_b64 s[0:1], vcc
	s_xor_b64 s[0:1], exec, s[0:1]
; %bb.26:
                                        ; implicit-def: $vgpr9
; %bb.27:
	s_andn2_saveexec_b64 s[0:1], s[0:1]
	s_cbranch_execz .LBB83_29
; %bb.28:
	ds_read2_b64 v[5:8], v9 offset1:10
	s_waitcnt lgkmcnt(0)
	v_add_f32_e32 v5, v7, v5
	v_add_f32_e32 v6, v8, v6
	ds_write_b64 v9, v[5:6]
	s_waitcnt lgkmcnt(0)
	ds_read_b64 v[5:6], v9
.LBB83_29:
	s_or_b64 exec, exec, s[0:1]
	s_waitcnt lgkmcnt(0)
	v_mov_b32_e32 v8, v6
	v_mov_b32_e32 v7, v5
.LBB83_30:
	v_cmp_gt_u32_e32 vcc, 10, v0
	s_and_b64 exec, exec, vcc
	s_cbranch_execz .LBB83_35
; %bb.31:
	v_cmp_eq_f32_e32 vcc, 0, v1
	v_cmp_eq_f32_e64 s[0:1], 0, v2
	s_waitcnt lgkmcnt(0)
	v_mul_f32_e64 v5, v8, -v4
	v_mul_f32_e32 v6, v3, v8
	s_and_b64 s[0:1], vcc, s[0:1]
	v_fmac_f32_e32 v5, v3, v7
	v_fmac_f32_e32 v6, v4, v7
	s_and_saveexec_b64 s[2:3], s[0:1]
	s_xor_b64 s[0:1], exec, s[2:3]
	s_cbranch_execz .LBB83_33
; %bb.32:
	v_mad_u64_u32 v[0:1], s[2:3], s6, 10, v[0:1]
	v_mov_b32_e32 v1, 0
	v_mov_b32_e32 v2, s9
	v_lshlrev_b64 v[0:1], 3, v[0:1]
	v_add_co_u32_e32 v0, vcc, s8, v0
	v_addc_co_u32_e32 v1, vcc, v2, v1, vcc
	global_store_dwordx2 v[0:1], v[5:6], off
                                        ; implicit-def: $vgpr0
                                        ; implicit-def: $vgpr1_vgpr2
                                        ; implicit-def: $vgpr5
.LBB83_33:
	s_andn2_saveexec_b64 s[0:1], s[0:1]
	s_cbranch_execz .LBB83_35
; %bb.34:
	v_mad_u64_u32 v[3:4], s[0:1], s6, 10, v[0:1]
	v_mov_b32_e32 v4, 0
	v_mov_b32_e32 v0, s9
	v_lshlrev_b64 v[3:4], 3, v[3:4]
	v_add_co_u32_e32 v3, vcc, s8, v3
	v_addc_co_u32_e32 v4, vcc, v0, v4, vcc
	global_load_dwordx2 v[7:8], v[3:4], off
	s_waitcnt vmcnt(0)
	v_fmac_f32_e32 v5, v1, v7
	v_fmac_f32_e32 v6, v2, v7
	v_fma_f32 v5, -v2, v8, v5
	v_fmac_f32_e32 v6, v1, v8
	global_store_dwordx2 v[3:4], v[5:6], off
.LBB83_35:
	s_endpgm
	.section	.rodata,"a",@progbits
	.p2align	6, 0x0
	.amdhsa_kernel _ZN9rocsparseL22gebsrmvn_mxn_16_kernelILj60ELj10ELj6E21rocsparse_complex_numIfEEEvi20rocsparse_direction_NS_24const_host_device_scalarIT2_EEPKiS8_PKS5_iiSA_S6_PS5_21rocsparse_index_base_b
		.amdhsa_group_segment_fixed_size 480
		.amdhsa_private_segment_fixed_size 0
		.amdhsa_kernarg_size 80
		.amdhsa_user_sgpr_count 6
		.amdhsa_user_sgpr_private_segment_buffer 1
		.amdhsa_user_sgpr_dispatch_ptr 0
		.amdhsa_user_sgpr_queue_ptr 0
		.amdhsa_user_sgpr_kernarg_segment_ptr 1
		.amdhsa_user_sgpr_dispatch_id 0
		.amdhsa_user_sgpr_flat_scratch_init 0
		.amdhsa_user_sgpr_private_segment_size 0
		.amdhsa_uses_dynamic_stack 0
		.amdhsa_system_sgpr_private_segment_wavefront_offset 0
		.amdhsa_system_sgpr_workgroup_id_x 1
		.amdhsa_system_sgpr_workgroup_id_y 0
		.amdhsa_system_sgpr_workgroup_id_z 0
		.amdhsa_system_sgpr_workgroup_info 0
		.amdhsa_system_vgpr_workitem_id 0
		.amdhsa_next_free_vgpr 18
		.amdhsa_next_free_sgpr 18
		.amdhsa_reserve_vcc 1
		.amdhsa_reserve_flat_scratch 0
		.amdhsa_float_round_mode_32 0
		.amdhsa_float_round_mode_16_64 0
		.amdhsa_float_denorm_mode_32 3
		.amdhsa_float_denorm_mode_16_64 3
		.amdhsa_dx10_clamp 1
		.amdhsa_ieee_mode 1
		.amdhsa_fp16_overflow 0
		.amdhsa_exception_fp_ieee_invalid_op 0
		.amdhsa_exception_fp_denorm_src 0
		.amdhsa_exception_fp_ieee_div_zero 0
		.amdhsa_exception_fp_ieee_overflow 0
		.amdhsa_exception_fp_ieee_underflow 0
		.amdhsa_exception_fp_ieee_inexact 0
		.amdhsa_exception_int_div_zero 0
	.end_amdhsa_kernel
	.section	.text._ZN9rocsparseL22gebsrmvn_mxn_16_kernelILj60ELj10ELj6E21rocsparse_complex_numIfEEEvi20rocsparse_direction_NS_24const_host_device_scalarIT2_EEPKiS8_PKS5_iiSA_S6_PS5_21rocsparse_index_base_b,"axG",@progbits,_ZN9rocsparseL22gebsrmvn_mxn_16_kernelILj60ELj10ELj6E21rocsparse_complex_numIfEEEvi20rocsparse_direction_NS_24const_host_device_scalarIT2_EEPKiS8_PKS5_iiSA_S6_PS5_21rocsparse_index_base_b,comdat
.Lfunc_end83:
	.size	_ZN9rocsparseL22gebsrmvn_mxn_16_kernelILj60ELj10ELj6E21rocsparse_complex_numIfEEEvi20rocsparse_direction_NS_24const_host_device_scalarIT2_EEPKiS8_PKS5_iiSA_S6_PS5_21rocsparse_index_base_b, .Lfunc_end83-_ZN9rocsparseL22gebsrmvn_mxn_16_kernelILj60ELj10ELj6E21rocsparse_complex_numIfEEEvi20rocsparse_direction_NS_24const_host_device_scalarIT2_EEPKiS8_PKS5_iiSA_S6_PS5_21rocsparse_index_base_b
                                        ; -- End function
	.set _ZN9rocsparseL22gebsrmvn_mxn_16_kernelILj60ELj10ELj6E21rocsparse_complex_numIfEEEvi20rocsparse_direction_NS_24const_host_device_scalarIT2_EEPKiS8_PKS5_iiSA_S6_PS5_21rocsparse_index_base_b.num_vgpr, 18
	.set _ZN9rocsparseL22gebsrmvn_mxn_16_kernelILj60ELj10ELj6E21rocsparse_complex_numIfEEEvi20rocsparse_direction_NS_24const_host_device_scalarIT2_EEPKiS8_PKS5_iiSA_S6_PS5_21rocsparse_index_base_b.num_agpr, 0
	.set _ZN9rocsparseL22gebsrmvn_mxn_16_kernelILj60ELj10ELj6E21rocsparse_complex_numIfEEEvi20rocsparse_direction_NS_24const_host_device_scalarIT2_EEPKiS8_PKS5_iiSA_S6_PS5_21rocsparse_index_base_b.numbered_sgpr, 18
	.set _ZN9rocsparseL22gebsrmvn_mxn_16_kernelILj60ELj10ELj6E21rocsparse_complex_numIfEEEvi20rocsparse_direction_NS_24const_host_device_scalarIT2_EEPKiS8_PKS5_iiSA_S6_PS5_21rocsparse_index_base_b.num_named_barrier, 0
	.set _ZN9rocsparseL22gebsrmvn_mxn_16_kernelILj60ELj10ELj6E21rocsparse_complex_numIfEEEvi20rocsparse_direction_NS_24const_host_device_scalarIT2_EEPKiS8_PKS5_iiSA_S6_PS5_21rocsparse_index_base_b.private_seg_size, 0
	.set _ZN9rocsparseL22gebsrmvn_mxn_16_kernelILj60ELj10ELj6E21rocsparse_complex_numIfEEEvi20rocsparse_direction_NS_24const_host_device_scalarIT2_EEPKiS8_PKS5_iiSA_S6_PS5_21rocsparse_index_base_b.uses_vcc, 1
	.set _ZN9rocsparseL22gebsrmvn_mxn_16_kernelILj60ELj10ELj6E21rocsparse_complex_numIfEEEvi20rocsparse_direction_NS_24const_host_device_scalarIT2_EEPKiS8_PKS5_iiSA_S6_PS5_21rocsparse_index_base_b.uses_flat_scratch, 0
	.set _ZN9rocsparseL22gebsrmvn_mxn_16_kernelILj60ELj10ELj6E21rocsparse_complex_numIfEEEvi20rocsparse_direction_NS_24const_host_device_scalarIT2_EEPKiS8_PKS5_iiSA_S6_PS5_21rocsparse_index_base_b.has_dyn_sized_stack, 0
	.set _ZN9rocsparseL22gebsrmvn_mxn_16_kernelILj60ELj10ELj6E21rocsparse_complex_numIfEEEvi20rocsparse_direction_NS_24const_host_device_scalarIT2_EEPKiS8_PKS5_iiSA_S6_PS5_21rocsparse_index_base_b.has_recursion, 0
	.set _ZN9rocsparseL22gebsrmvn_mxn_16_kernelILj60ELj10ELj6E21rocsparse_complex_numIfEEEvi20rocsparse_direction_NS_24const_host_device_scalarIT2_EEPKiS8_PKS5_iiSA_S6_PS5_21rocsparse_index_base_b.has_indirect_call, 0
	.section	.AMDGPU.csdata,"",@progbits
; Kernel info:
; codeLenInByte = 1132
; TotalNumSgprs: 22
; NumVgprs: 18
; ScratchSize: 0
; MemoryBound: 0
; FloatMode: 240
; IeeeMode: 1
; LDSByteSize: 480 bytes/workgroup (compile time only)
; SGPRBlocks: 2
; VGPRBlocks: 4
; NumSGPRsForWavesPerEU: 22
; NumVGPRsForWavesPerEU: 18
; Occupancy: 10
; WaveLimiterHint : 1
; COMPUTE_PGM_RSRC2:SCRATCH_EN: 0
; COMPUTE_PGM_RSRC2:USER_SGPR: 6
; COMPUTE_PGM_RSRC2:TRAP_HANDLER: 0
; COMPUTE_PGM_RSRC2:TGID_X_EN: 1
; COMPUTE_PGM_RSRC2:TGID_Y_EN: 0
; COMPUTE_PGM_RSRC2:TGID_Z_EN: 0
; COMPUTE_PGM_RSRC2:TIDIG_COMP_CNT: 0
	.section	.text._ZN9rocsparseL22gebsrmvn_mxn_16_kernelILj70ELj10ELj7E21rocsparse_complex_numIfEEEvi20rocsparse_direction_NS_24const_host_device_scalarIT2_EEPKiS8_PKS5_iiSA_S6_PS5_21rocsparse_index_base_b,"axG",@progbits,_ZN9rocsparseL22gebsrmvn_mxn_16_kernelILj70ELj10ELj7E21rocsparse_complex_numIfEEEvi20rocsparse_direction_NS_24const_host_device_scalarIT2_EEPKiS8_PKS5_iiSA_S6_PS5_21rocsparse_index_base_b,comdat
	.globl	_ZN9rocsparseL22gebsrmvn_mxn_16_kernelILj70ELj10ELj7E21rocsparse_complex_numIfEEEvi20rocsparse_direction_NS_24const_host_device_scalarIT2_EEPKiS8_PKS5_iiSA_S6_PS5_21rocsparse_index_base_b ; -- Begin function _ZN9rocsparseL22gebsrmvn_mxn_16_kernelILj70ELj10ELj7E21rocsparse_complex_numIfEEEvi20rocsparse_direction_NS_24const_host_device_scalarIT2_EEPKiS8_PKS5_iiSA_S6_PS5_21rocsparse_index_base_b
	.p2align	8
	.type	_ZN9rocsparseL22gebsrmvn_mxn_16_kernelILj70ELj10ELj7E21rocsparse_complex_numIfEEEvi20rocsparse_direction_NS_24const_host_device_scalarIT2_EEPKiS8_PKS5_iiSA_S6_PS5_21rocsparse_index_base_b,@function
_ZN9rocsparseL22gebsrmvn_mxn_16_kernelILj70ELj10ELj7E21rocsparse_complex_numIfEEEvi20rocsparse_direction_NS_24const_host_device_scalarIT2_EEPKiS8_PKS5_iiSA_S6_PS5_21rocsparse_index_base_b: ; @_ZN9rocsparseL22gebsrmvn_mxn_16_kernelILj70ELj10ELj7E21rocsparse_complex_numIfEEEvi20rocsparse_direction_NS_24const_host_device_scalarIT2_EEPKiS8_PKS5_iiSA_S6_PS5_21rocsparse_index_base_b
; %bb.0:
	s_load_dwordx2 s[0:1], s[4:5], 0x8
	s_load_dwordx2 s[2:3], s[4:5], 0x38
	;; [unrolled: 1-line block ×3, first 2 shown]
	s_add_u32 s7, s4, 8
	s_addc_u32 s8, s5, 0
	s_add_u32 s9, s4, 56
	s_addc_u32 s12, s5, 0
	s_waitcnt lgkmcnt(0)
	s_bitcmp1_b32 s11, 0
	s_cselect_b32 s1, s8, s1
	s_cselect_b32 s0, s7, s0
	v_mov_b32_e32 v1, s0
	v_mov_b32_e32 v2, s1
	flat_load_dwordx2 v[3:4], v[1:2]
	s_cselect_b32 s0, s12, s3
	s_cselect_b32 s1, s9, s2
	v_mov_b32_e32 v1, s1
	v_mov_b32_e32 v2, s0
	flat_load_dwordx2 v[1:2], v[1:2]
	s_waitcnt vmcnt(0) lgkmcnt(0)
	v_cmp_eq_f32_e32 vcc, 0, v3
	v_cmp_eq_f32_e64 s[0:1], 0, v4
	s_and_b64 s[8:9], vcc, s[0:1]
	s_mov_b64 s[0:1], -1
	s_and_saveexec_b64 s[2:3], s[8:9]
; %bb.1:
	v_cmp_neq_f32_e32 vcc, 1.0, v1
	v_cmp_neq_f32_e64 s[0:1], 0, v2
	s_or_b64 s[0:1], vcc, s[0:1]
	s_orn2_b64 s[0:1], s[0:1], exec
; %bb.2:
	s_or_b64 exec, exec, s[2:3]
	s_and_saveexec_b64 s[2:3], s[0:1]
	s_cbranch_execz .LBB84_35
; %bb.3:
	s_load_dwordx2 s[0:1], s[4:5], 0x10
	s_load_dword s2, s[4:5], 0x4
	v_mul_u32_u24_e32 v6, 0x2493, v0
	v_mov_b32_e32 v5, 7
	v_mul_lo_u16_sdwa v6, v6, v5 dst_sel:DWORD dst_unused:UNUSED_PAD src0_sel:WORD_1 src1_sel:DWORD
	v_sub_u16_e32 v12, v0, v6
	s_waitcnt lgkmcnt(0)
	s_cmp_lg_u32 s2, 1
	s_cselect_b64 s[12:13], -1, 0
	s_and_b64 vcc, exec, s[12:13]
	v_mov_b32_e32 v7, v12
	s_cbranch_vccnz .LBB84_5
; %bb.4:
	s_movk_i32 s2, 0x199a
	v_mul_u32_u24_sdwa v6, v0, s2 dst_sel:DWORD dst_unused:UNUSED_PAD src0_sel:WORD_0 src1_sel:DWORD
	v_mov_b32_e32 v7, 37
	v_mul_lo_u16_sdwa v7, v6, v7 dst_sel:DWORD dst_unused:UNUSED_PAD src0_sel:WORD_1 src1_sel:DWORD
	v_mul_lo_u16_sdwa v5, v7, v5 dst_sel:DWORD dst_unused:UNUSED_PAD src0_sel:BYTE_1 src1_sel:DWORD
	v_sub_u16_sdwa v5, v6, v5 dst_sel:DWORD dst_unused:UNUSED_PAD src0_sel:WORD_1 src1_sel:DWORD
	v_and_b32_e32 v7, 0xff, v5
.LBB84_5:
	s_ashr_i32 s7, s6, 31
	s_lshl_b64 s[2:3], s[6:7], 2
	s_add_u32 s0, s0, s2
	s_addc_u32 s1, s1, s3
	s_load_dwordx2 s[16:17], s[0:1], 0x0
	s_load_dwordx2 s[8:9], s[4:5], 0x40
	v_mov_b32_e32 v6, 0
	v_mov_b32_e32 v5, 0
	s_waitcnt lgkmcnt(0)
	s_cmp_ge_i32 s16, s17
	s_cbranch_scc1 .LBB84_10
; %bb.6:
	s_load_dwordx4 s[0:3], s[4:5], 0x18
	s_load_dwordx2 s[14:15], s[4:5], 0x30
	s_movk_i32 s4, 0x3a9
	v_mul_u32_u24_sdwa v13, v0, s4 dst_sel:DWORD dst_unused:UNUSED_PAD src0_sel:WORD_0 src1_sel:DWORD
	s_mul_i32 s4, s16, 0x46
	v_add_u32_e32 v5, s4, v0
	s_mul_i32 s4, s10, 0x46
	v_mov_b32_e32 v9, 0
	s_sub_i32 s7, s17, s10
	s_sub_i32 s11, s16, s10
	v_subrev_u32_e32 v8, s4, v5
	v_mov_b32_e32 v6, v9
	v_mov_b32_e32 v5, v9
	s_branch .LBB84_8
.LBB84_7:                               ;   in Loop: Header=BB84_8 Depth=1
	s_or_b64 exec, exec, s[4:5]
	s_add_i32 s11, s11, 1
	s_cmp_ge_i32 s11, s7
	v_add_u32_e32 v8, 0x46, v8
	s_cbranch_scc1 .LBB84_10
.LBB84_8:                               ; =>This Inner Loop Header: Depth=1
	v_add_u32_sdwa v10, v13, s11 dst_sel:DWORD dst_unused:UNUSED_PAD src0_sel:WORD_1 src1_sel:DWORD
	v_cmp_gt_i32_e32 vcc, s7, v10
	s_and_saveexec_b64 s[4:5], vcc
	s_cbranch_execz .LBB84_7
; %bb.9:                                ;   in Loop: Header=BB84_8 Depth=1
	v_ashrrev_i32_e32 v11, 31, v10
	v_lshlrev_b64 v[10:11], 2, v[10:11]
	s_waitcnt lgkmcnt(0)
	v_mov_b32_e32 v14, s1
	v_add_co_u32_e32 v10, vcc, s0, v10
	v_addc_co_u32_e32 v11, vcc, v14, v11, vcc
	global_load_dword v14, v[10:11], off
	v_lshlrev_b64 v[10:11], 3, v[8:9]
	v_mov_b32_e32 v16, s3
	v_add_co_u32_e32 v10, vcc, s2, v10
	v_addc_co_u32_e32 v11, vcc, v16, v11, vcc
	v_mov_b32_e32 v17, s15
	global_load_dwordx2 v[10:11], v[10:11], off
	s_waitcnt vmcnt(1)
	v_subrev_u32_e32 v14, s10, v14
	v_mad_u64_u32 v[14:15], s[16:17], v14, 7, v[7:8]
	v_ashrrev_i32_e32 v15, 31, v14
	v_lshlrev_b64 v[14:15], 3, v[14:15]
	v_add_co_u32_e32 v14, vcc, s14, v14
	v_addc_co_u32_e32 v15, vcc, v17, v15, vcc
	global_load_dwordx2 v[14:15], v[14:15], off
	s_waitcnt vmcnt(0)
	v_fmac_f32_e32 v5, v10, v14
	v_fmac_f32_e32 v6, v11, v14
	v_fma_f32 v5, -v11, v15, v5
	v_fmac_f32_e32 v6, v10, v15
	s_branch .LBB84_7
.LBB84_10:
	v_lshlrev_b32_e32 v9, 3, v0
	s_and_b64 vcc, exec, s[12:13]
	ds_write_b64 v9, v[5:6]
	s_waitcnt lgkmcnt(0)
	s_barrier
	s_cbranch_vccz .LBB84_20
; %bb.11:
	v_cmp_gt_u16_e32 vcc, 3, v12
	s_and_saveexec_b64 s[0:1], vcc
	s_cbranch_execz .LBB84_13
; %bb.12:
	ds_read2_b64 v[13:16], v9 offset1:4
	s_waitcnt lgkmcnt(0)
	v_add_f32_e32 v7, v15, v13
	v_add_f32_e32 v8, v16, v14
	ds_write_b64 v9, v[7:8]
.LBB84_13:
	s_or_b64 exec, exec, s[0:1]
	v_cmp_gt_u16_e32 vcc, 2, v12
	s_waitcnt lgkmcnt(0)
	s_barrier
	s_and_saveexec_b64 s[0:1], vcc
	s_cbranch_execz .LBB84_15
; %bb.14:
	ds_read2_b64 v[13:16], v9 offset1:2
	s_waitcnt lgkmcnt(0)
	v_add_f32_e32 v7, v15, v13
	v_add_f32_e32 v8, v16, v14
	ds_write_b64 v9, v[7:8]
.LBB84_15:
	s_or_b64 exec, exec, s[0:1]
	v_cmp_eq_u16_e32 vcc, 0, v12
	s_waitcnt lgkmcnt(0)
	s_barrier
	s_and_saveexec_b64 s[0:1], vcc
	s_cbranch_execz .LBB84_17
; %bb.16:
	ds_read2_b64 v[10:13], v9 offset1:1
	s_waitcnt lgkmcnt(0)
	v_add_f32_e32 v7, v12, v10
	v_add_f32_e32 v8, v13, v11
	ds_write_b64 v9, v[7:8]
.LBB84_17:
	s_or_b64 exec, exec, s[0:1]
	v_cmp_gt_u32_e32 vcc, 10, v0
	v_mov_b32_e32 v8, v6
	v_mov_b32_e32 v7, v5
	s_waitcnt lgkmcnt(0)
	s_barrier
	s_and_saveexec_b64 s[0:1], vcc
; %bb.18:
	v_mad_u32_u24 v7, v0, 48, v9
	ds_read_b64 v[7:8], v7
; %bb.19:
	s_or_b64 exec, exec, s[0:1]
	s_branch .LBB84_30
.LBB84_20:
                                        ; implicit-def: $vgpr8
	s_cbranch_execz .LBB84_30
; %bb.21:
	v_cmp_gt_u32_e32 vcc, 30, v0
	s_and_saveexec_b64 s[0:1], vcc
	s_cbranch_execz .LBB84_23
; %bb.22:
	ds_read2_b64 v[10:13], v9 offset1:40
	s_waitcnt lgkmcnt(0)
	v_add_f32_e32 v7, v12, v10
	v_add_f32_e32 v8, v13, v11
	ds_write_b64 v9, v[7:8]
.LBB84_23:
	s_or_b64 exec, exec, s[0:1]
	v_cmp_gt_u32_e32 vcc, 20, v0
	s_waitcnt lgkmcnt(0)
	s_barrier
	s_and_saveexec_b64 s[0:1], vcc
	s_cbranch_execz .LBB84_25
; %bb.24:
	ds_read2_b64 v[10:13], v9 offset1:20
	s_waitcnt lgkmcnt(0)
	v_add_f32_e32 v7, v12, v10
	v_add_f32_e32 v8, v13, v11
	ds_write_b64 v9, v[7:8]
.LBB84_25:
	s_or_b64 exec, exec, s[0:1]
	v_cmp_lt_u32_e32 vcc, 9, v0
	s_waitcnt lgkmcnt(0)
	s_and_saveexec_b64 s[0:1], vcc
	s_xor_b64 s[0:1], exec, s[0:1]
; %bb.26:
                                        ; implicit-def: $vgpr9
; %bb.27:
	s_andn2_saveexec_b64 s[0:1], s[0:1]
	s_cbranch_execz .LBB84_29
; %bb.28:
	ds_read2_b64 v[5:8], v9 offset1:10
	s_waitcnt lgkmcnt(0)
	v_add_f32_e32 v5, v7, v5
	v_add_f32_e32 v6, v8, v6
	ds_write_b64 v9, v[5:6]
	s_waitcnt lgkmcnt(0)
	ds_read_b64 v[5:6], v9
.LBB84_29:
	s_or_b64 exec, exec, s[0:1]
	s_waitcnt lgkmcnt(0)
	v_mov_b32_e32 v8, v6
	v_mov_b32_e32 v7, v5
.LBB84_30:
	v_cmp_gt_u32_e32 vcc, 10, v0
	s_and_b64 exec, exec, vcc
	s_cbranch_execz .LBB84_35
; %bb.31:
	v_cmp_eq_f32_e32 vcc, 0, v1
	v_cmp_eq_f32_e64 s[0:1], 0, v2
	s_waitcnt lgkmcnt(0)
	v_mul_f32_e64 v5, v8, -v4
	v_mul_f32_e32 v6, v3, v8
	s_and_b64 s[0:1], vcc, s[0:1]
	v_fmac_f32_e32 v5, v3, v7
	v_fmac_f32_e32 v6, v4, v7
	s_and_saveexec_b64 s[2:3], s[0:1]
	s_xor_b64 s[0:1], exec, s[2:3]
	s_cbranch_execz .LBB84_33
; %bb.32:
	v_mad_u64_u32 v[0:1], s[2:3], s6, 10, v[0:1]
	v_mov_b32_e32 v1, 0
	v_mov_b32_e32 v2, s9
	v_lshlrev_b64 v[0:1], 3, v[0:1]
	v_add_co_u32_e32 v0, vcc, s8, v0
	v_addc_co_u32_e32 v1, vcc, v2, v1, vcc
	global_store_dwordx2 v[0:1], v[5:6], off
                                        ; implicit-def: $vgpr0
                                        ; implicit-def: $vgpr1_vgpr2
                                        ; implicit-def: $vgpr5
.LBB84_33:
	s_andn2_saveexec_b64 s[0:1], s[0:1]
	s_cbranch_execz .LBB84_35
; %bb.34:
	v_mad_u64_u32 v[3:4], s[0:1], s6, 10, v[0:1]
	v_mov_b32_e32 v4, 0
	v_mov_b32_e32 v0, s9
	v_lshlrev_b64 v[3:4], 3, v[3:4]
	v_add_co_u32_e32 v3, vcc, s8, v3
	v_addc_co_u32_e32 v4, vcc, v0, v4, vcc
	global_load_dwordx2 v[7:8], v[3:4], off
	s_waitcnt vmcnt(0)
	v_fmac_f32_e32 v5, v1, v7
	v_fmac_f32_e32 v6, v2, v7
	v_fma_f32 v5, -v2, v8, v5
	v_fmac_f32_e32 v6, v1, v8
	global_store_dwordx2 v[3:4], v[5:6], off
.LBB84_35:
	s_endpgm
	.section	.rodata,"a",@progbits
	.p2align	6, 0x0
	.amdhsa_kernel _ZN9rocsparseL22gebsrmvn_mxn_16_kernelILj70ELj10ELj7E21rocsparse_complex_numIfEEEvi20rocsparse_direction_NS_24const_host_device_scalarIT2_EEPKiS8_PKS5_iiSA_S6_PS5_21rocsparse_index_base_b
		.amdhsa_group_segment_fixed_size 560
		.amdhsa_private_segment_fixed_size 0
		.amdhsa_kernarg_size 80
		.amdhsa_user_sgpr_count 6
		.amdhsa_user_sgpr_private_segment_buffer 1
		.amdhsa_user_sgpr_dispatch_ptr 0
		.amdhsa_user_sgpr_queue_ptr 0
		.amdhsa_user_sgpr_kernarg_segment_ptr 1
		.amdhsa_user_sgpr_dispatch_id 0
		.amdhsa_user_sgpr_flat_scratch_init 0
		.amdhsa_user_sgpr_private_segment_size 0
		.amdhsa_uses_dynamic_stack 0
		.amdhsa_system_sgpr_private_segment_wavefront_offset 0
		.amdhsa_system_sgpr_workgroup_id_x 1
		.amdhsa_system_sgpr_workgroup_id_y 0
		.amdhsa_system_sgpr_workgroup_id_z 0
		.amdhsa_system_sgpr_workgroup_info 0
		.amdhsa_system_vgpr_workitem_id 0
		.amdhsa_next_free_vgpr 18
		.amdhsa_next_free_sgpr 18
		.amdhsa_reserve_vcc 1
		.amdhsa_reserve_flat_scratch 0
		.amdhsa_float_round_mode_32 0
		.amdhsa_float_round_mode_16_64 0
		.amdhsa_float_denorm_mode_32 3
		.amdhsa_float_denorm_mode_16_64 3
		.amdhsa_dx10_clamp 1
		.amdhsa_ieee_mode 1
		.amdhsa_fp16_overflow 0
		.amdhsa_exception_fp_ieee_invalid_op 0
		.amdhsa_exception_fp_denorm_src 0
		.amdhsa_exception_fp_ieee_div_zero 0
		.amdhsa_exception_fp_ieee_overflow 0
		.amdhsa_exception_fp_ieee_underflow 0
		.amdhsa_exception_fp_ieee_inexact 0
		.amdhsa_exception_int_div_zero 0
	.end_amdhsa_kernel
	.section	.text._ZN9rocsparseL22gebsrmvn_mxn_16_kernelILj70ELj10ELj7E21rocsparse_complex_numIfEEEvi20rocsparse_direction_NS_24const_host_device_scalarIT2_EEPKiS8_PKS5_iiSA_S6_PS5_21rocsparse_index_base_b,"axG",@progbits,_ZN9rocsparseL22gebsrmvn_mxn_16_kernelILj70ELj10ELj7E21rocsparse_complex_numIfEEEvi20rocsparse_direction_NS_24const_host_device_scalarIT2_EEPKiS8_PKS5_iiSA_S6_PS5_21rocsparse_index_base_b,comdat
.Lfunc_end84:
	.size	_ZN9rocsparseL22gebsrmvn_mxn_16_kernelILj70ELj10ELj7E21rocsparse_complex_numIfEEEvi20rocsparse_direction_NS_24const_host_device_scalarIT2_EEPKiS8_PKS5_iiSA_S6_PS5_21rocsparse_index_base_b, .Lfunc_end84-_ZN9rocsparseL22gebsrmvn_mxn_16_kernelILj70ELj10ELj7E21rocsparse_complex_numIfEEEvi20rocsparse_direction_NS_24const_host_device_scalarIT2_EEPKiS8_PKS5_iiSA_S6_PS5_21rocsparse_index_base_b
                                        ; -- End function
	.set _ZN9rocsparseL22gebsrmvn_mxn_16_kernelILj70ELj10ELj7E21rocsparse_complex_numIfEEEvi20rocsparse_direction_NS_24const_host_device_scalarIT2_EEPKiS8_PKS5_iiSA_S6_PS5_21rocsparse_index_base_b.num_vgpr, 18
	.set _ZN9rocsparseL22gebsrmvn_mxn_16_kernelILj70ELj10ELj7E21rocsparse_complex_numIfEEEvi20rocsparse_direction_NS_24const_host_device_scalarIT2_EEPKiS8_PKS5_iiSA_S6_PS5_21rocsparse_index_base_b.num_agpr, 0
	.set _ZN9rocsparseL22gebsrmvn_mxn_16_kernelILj70ELj10ELj7E21rocsparse_complex_numIfEEEvi20rocsparse_direction_NS_24const_host_device_scalarIT2_EEPKiS8_PKS5_iiSA_S6_PS5_21rocsparse_index_base_b.numbered_sgpr, 18
	.set _ZN9rocsparseL22gebsrmvn_mxn_16_kernelILj70ELj10ELj7E21rocsparse_complex_numIfEEEvi20rocsparse_direction_NS_24const_host_device_scalarIT2_EEPKiS8_PKS5_iiSA_S6_PS5_21rocsparse_index_base_b.num_named_barrier, 0
	.set _ZN9rocsparseL22gebsrmvn_mxn_16_kernelILj70ELj10ELj7E21rocsparse_complex_numIfEEEvi20rocsparse_direction_NS_24const_host_device_scalarIT2_EEPKiS8_PKS5_iiSA_S6_PS5_21rocsparse_index_base_b.private_seg_size, 0
	.set _ZN9rocsparseL22gebsrmvn_mxn_16_kernelILj70ELj10ELj7E21rocsparse_complex_numIfEEEvi20rocsparse_direction_NS_24const_host_device_scalarIT2_EEPKiS8_PKS5_iiSA_S6_PS5_21rocsparse_index_base_b.uses_vcc, 1
	.set _ZN9rocsparseL22gebsrmvn_mxn_16_kernelILj70ELj10ELj7E21rocsparse_complex_numIfEEEvi20rocsparse_direction_NS_24const_host_device_scalarIT2_EEPKiS8_PKS5_iiSA_S6_PS5_21rocsparse_index_base_b.uses_flat_scratch, 0
	.set _ZN9rocsparseL22gebsrmvn_mxn_16_kernelILj70ELj10ELj7E21rocsparse_complex_numIfEEEvi20rocsparse_direction_NS_24const_host_device_scalarIT2_EEPKiS8_PKS5_iiSA_S6_PS5_21rocsparse_index_base_b.has_dyn_sized_stack, 0
	.set _ZN9rocsparseL22gebsrmvn_mxn_16_kernelILj70ELj10ELj7E21rocsparse_complex_numIfEEEvi20rocsparse_direction_NS_24const_host_device_scalarIT2_EEPKiS8_PKS5_iiSA_S6_PS5_21rocsparse_index_base_b.has_recursion, 0
	.set _ZN9rocsparseL22gebsrmvn_mxn_16_kernelILj70ELj10ELj7E21rocsparse_complex_numIfEEEvi20rocsparse_direction_NS_24const_host_device_scalarIT2_EEPKiS8_PKS5_iiSA_S6_PS5_21rocsparse_index_base_b.has_indirect_call, 0
	.section	.AMDGPU.csdata,"",@progbits
; Kernel info:
; codeLenInByte = 1172
; TotalNumSgprs: 22
; NumVgprs: 18
; ScratchSize: 0
; MemoryBound: 0
; FloatMode: 240
; IeeeMode: 1
; LDSByteSize: 560 bytes/workgroup (compile time only)
; SGPRBlocks: 2
; VGPRBlocks: 4
; NumSGPRsForWavesPerEU: 22
; NumVGPRsForWavesPerEU: 18
; Occupancy: 10
; WaveLimiterHint : 1
; COMPUTE_PGM_RSRC2:SCRATCH_EN: 0
; COMPUTE_PGM_RSRC2:USER_SGPR: 6
; COMPUTE_PGM_RSRC2:TRAP_HANDLER: 0
; COMPUTE_PGM_RSRC2:TGID_X_EN: 1
; COMPUTE_PGM_RSRC2:TGID_Y_EN: 0
; COMPUTE_PGM_RSRC2:TGID_Z_EN: 0
; COMPUTE_PGM_RSRC2:TIDIG_COMP_CNT: 0
	.section	.text._ZN9rocsparseL22gebsrmvn_mxn_16_kernelILj80ELj10ELj8E21rocsparse_complex_numIfEEEvi20rocsparse_direction_NS_24const_host_device_scalarIT2_EEPKiS8_PKS5_iiSA_S6_PS5_21rocsparse_index_base_b,"axG",@progbits,_ZN9rocsparseL22gebsrmvn_mxn_16_kernelILj80ELj10ELj8E21rocsparse_complex_numIfEEEvi20rocsparse_direction_NS_24const_host_device_scalarIT2_EEPKiS8_PKS5_iiSA_S6_PS5_21rocsparse_index_base_b,comdat
	.globl	_ZN9rocsparseL22gebsrmvn_mxn_16_kernelILj80ELj10ELj8E21rocsparse_complex_numIfEEEvi20rocsparse_direction_NS_24const_host_device_scalarIT2_EEPKiS8_PKS5_iiSA_S6_PS5_21rocsparse_index_base_b ; -- Begin function _ZN9rocsparseL22gebsrmvn_mxn_16_kernelILj80ELj10ELj8E21rocsparse_complex_numIfEEEvi20rocsparse_direction_NS_24const_host_device_scalarIT2_EEPKiS8_PKS5_iiSA_S6_PS5_21rocsparse_index_base_b
	.p2align	8
	.type	_ZN9rocsparseL22gebsrmvn_mxn_16_kernelILj80ELj10ELj8E21rocsparse_complex_numIfEEEvi20rocsparse_direction_NS_24const_host_device_scalarIT2_EEPKiS8_PKS5_iiSA_S6_PS5_21rocsparse_index_base_b,@function
_ZN9rocsparseL22gebsrmvn_mxn_16_kernelILj80ELj10ELj8E21rocsparse_complex_numIfEEEvi20rocsparse_direction_NS_24const_host_device_scalarIT2_EEPKiS8_PKS5_iiSA_S6_PS5_21rocsparse_index_base_b: ; @_ZN9rocsparseL22gebsrmvn_mxn_16_kernelILj80ELj10ELj8E21rocsparse_complex_numIfEEEvi20rocsparse_direction_NS_24const_host_device_scalarIT2_EEPKiS8_PKS5_iiSA_S6_PS5_21rocsparse_index_base_b
; %bb.0:
	s_load_dwordx2 s[0:1], s[4:5], 0x8
	s_load_dwordx2 s[2:3], s[4:5], 0x38
	;; [unrolled: 1-line block ×3, first 2 shown]
	s_add_u32 s7, s4, 8
	s_addc_u32 s8, s5, 0
	s_add_u32 s9, s4, 56
	s_addc_u32 s12, s5, 0
	s_waitcnt lgkmcnt(0)
	s_bitcmp1_b32 s11, 0
	s_cselect_b32 s1, s8, s1
	s_cselect_b32 s0, s7, s0
	v_mov_b32_e32 v1, s0
	v_mov_b32_e32 v2, s1
	flat_load_dwordx2 v[3:4], v[1:2]
	s_cselect_b32 s0, s12, s3
	s_cselect_b32 s1, s9, s2
	v_mov_b32_e32 v1, s1
	v_mov_b32_e32 v2, s0
	flat_load_dwordx2 v[1:2], v[1:2]
	s_waitcnt vmcnt(0) lgkmcnt(0)
	v_cmp_eq_f32_e32 vcc, 0, v3
	v_cmp_eq_f32_e64 s[0:1], 0, v4
	s_and_b64 s[8:9], vcc, s[0:1]
	s_mov_b64 s[0:1], -1
	s_and_saveexec_b64 s[2:3], s[8:9]
; %bb.1:
	v_cmp_neq_f32_e32 vcc, 1.0, v1
	v_cmp_neq_f32_e64 s[0:1], 0, v2
	s_or_b64 s[0:1], vcc, s[0:1]
	s_orn2_b64 s[0:1], s[0:1], exec
; %bb.2:
	s_or_b64 exec, exec, s[2:3]
	s_and_saveexec_b64 s[2:3], s[0:1]
	s_cbranch_execz .LBB85_35
; %bb.3:
	s_load_dword s2, s[4:5], 0x4
	s_load_dwordx2 s[0:1], s[4:5], 0x10
	v_and_b32_e32 v11, 7, v0
	v_mov_b32_e32 v12, v11
	s_waitcnt lgkmcnt(0)
	s_cmp_lg_u32 s2, 1
	s_cselect_b64 s[12:13], -1, 0
	s_and_b64 vcc, exec, s[12:13]
	s_cbranch_vccnz .LBB85_5
; %bb.4:
	v_mul_u32_u24_e32 v5, 0x199a, v0
	v_bfe_u32 v12, v5, 16, 3
.LBB85_5:
	s_ashr_i32 s7, s6, 31
	s_lshl_b64 s[2:3], s[6:7], 2
	s_add_u32 s0, s0, s2
	s_addc_u32 s1, s1, s3
	s_load_dwordx2 s[16:17], s[0:1], 0x0
	s_load_dwordx2 s[8:9], s[4:5], 0x40
	v_mov_b32_e32 v6, 0
	v_mov_b32_e32 v5, 0
	s_waitcnt lgkmcnt(0)
	s_cmp_ge_i32 s16, s17
	s_cbranch_scc1 .LBB85_10
; %bb.6:
	s_load_dwordx4 s[0:3], s[4:5], 0x18
	s_load_dwordx2 s[14:15], s[4:5], 0x30
	s_mul_i32 s4, s16, 0x50
	v_add_u32_e32 v5, s4, v0
	s_mul_i32 s4, s10, 0x50
	v_mov_b32_e32 v8, 0
	s_sub_i32 s7, s17, s10
	s_sub_i32 s11, s16, s10
	v_mul_u32_u24_e32 v13, 0x334, v0
	v_subrev_u32_e32 v7, s4, v5
	v_mov_b32_e32 v6, v8
	v_mov_b32_e32 v5, v8
	s_branch .LBB85_8
.LBB85_7:                               ;   in Loop: Header=BB85_8 Depth=1
	s_or_b64 exec, exec, s[4:5]
	s_add_i32 s11, s11, 1
	s_cmp_ge_i32 s11, s7
	v_add_u32_e32 v7, 0x50, v7
	s_cbranch_scc1 .LBB85_10
.LBB85_8:                               ; =>This Inner Loop Header: Depth=1
	v_add_u32_sdwa v9, v13, s11 dst_sel:DWORD dst_unused:UNUSED_PAD src0_sel:WORD_1 src1_sel:DWORD
	v_cmp_gt_i32_e32 vcc, s7, v9
	s_and_saveexec_b64 s[4:5], vcc
	s_cbranch_execz .LBB85_7
; %bb.9:                                ;   in Loop: Header=BB85_8 Depth=1
	v_ashrrev_i32_e32 v10, 31, v9
	v_lshlrev_b64 v[9:10], 2, v[9:10]
	s_waitcnt lgkmcnt(0)
	v_mov_b32_e32 v14, s1
	v_add_co_u32_e32 v9, vcc, s0, v9
	v_addc_co_u32_e32 v10, vcc, v14, v10, vcc
	global_load_dword v14, v[9:10], off
	v_lshlrev_b64 v[9:10], 3, v[7:8]
	v_mov_b32_e32 v15, s3
	v_add_co_u32_e32 v9, vcc, s2, v9
	v_addc_co_u32_e32 v10, vcc, v15, v10, vcc
	v_mov_b32_e32 v16, s15
	global_load_dwordx2 v[9:10], v[9:10], off
	s_waitcnt vmcnt(1)
	v_subrev_u32_e32 v14, s10, v14
	v_lshl_or_b32 v14, v14, 3, v12
	v_ashrrev_i32_e32 v15, 31, v14
	v_lshlrev_b64 v[14:15], 3, v[14:15]
	v_add_co_u32_e32 v14, vcc, s14, v14
	v_addc_co_u32_e32 v15, vcc, v16, v15, vcc
	global_load_dwordx2 v[14:15], v[14:15], off
	s_waitcnt vmcnt(0)
	v_fmac_f32_e32 v5, v9, v14
	v_fmac_f32_e32 v6, v10, v14
	v_fma_f32 v5, -v10, v15, v5
	v_fmac_f32_e32 v6, v9, v15
	s_branch .LBB85_7
.LBB85_10:
	v_lshlrev_b32_e32 v9, 3, v0
	s_and_b64 vcc, exec, s[12:13]
	ds_write_b64 v9, v[5:6]
	s_waitcnt lgkmcnt(0)
	s_barrier
	s_cbranch_vccz .LBB85_20
; %bb.11:
	v_cmp_gt_u32_e32 vcc, 4, v11
	s_and_saveexec_b64 s[0:1], vcc
	s_cbranch_execz .LBB85_13
; %bb.12:
	ds_read2_b64 v[12:15], v9 offset1:4
	s_waitcnt lgkmcnt(0)
	v_add_f32_e32 v7, v14, v12
	v_add_f32_e32 v8, v15, v13
	ds_write_b64 v9, v[7:8]
.LBB85_13:
	s_or_b64 exec, exec, s[0:1]
	v_cmp_gt_u32_e32 vcc, 2, v11
	s_waitcnt lgkmcnt(0)
	s_barrier
	s_and_saveexec_b64 s[0:1], vcc
	s_cbranch_execz .LBB85_15
; %bb.14:
	ds_read2_b64 v[12:15], v9 offset1:2
	s_waitcnt lgkmcnt(0)
	v_add_f32_e32 v7, v14, v12
	v_add_f32_e32 v8, v15, v13
	ds_write_b64 v9, v[7:8]
.LBB85_15:
	s_or_b64 exec, exec, s[0:1]
	v_cmp_eq_u32_e32 vcc, 0, v11
	s_waitcnt lgkmcnt(0)
	s_barrier
	s_and_saveexec_b64 s[0:1], vcc
	s_cbranch_execz .LBB85_17
; %bb.16:
	ds_read2_b64 v[10:13], v9 offset1:1
	s_waitcnt lgkmcnt(0)
	v_add_f32_e32 v7, v12, v10
	v_add_f32_e32 v8, v13, v11
	ds_write_b64 v9, v[7:8]
.LBB85_17:
	s_or_b64 exec, exec, s[0:1]
	v_cmp_gt_u32_e32 vcc, 10, v0
	v_mov_b32_e32 v8, v6
	v_mov_b32_e32 v7, v5
	s_waitcnt lgkmcnt(0)
	s_barrier
	s_and_saveexec_b64 s[0:1], vcc
; %bb.18:
	v_mad_u32_u24 v7, v0, 56, v9
	ds_read_b64 v[7:8], v7
; %bb.19:
	s_or_b64 exec, exec, s[0:1]
	s_branch .LBB85_30
.LBB85_20:
                                        ; implicit-def: $vgpr8
	s_cbranch_execz .LBB85_30
; %bb.21:
	v_cmp_gt_u32_e32 vcc, 40, v0
	s_and_saveexec_b64 s[0:1], vcc
	s_cbranch_execz .LBB85_23
; %bb.22:
	ds_read2_b64 v[10:13], v9 offset1:40
	s_waitcnt lgkmcnt(0)
	v_add_f32_e32 v7, v12, v10
	v_add_f32_e32 v8, v13, v11
	ds_write_b64 v9, v[7:8]
.LBB85_23:
	s_or_b64 exec, exec, s[0:1]
	v_cmp_gt_u32_e32 vcc, 20, v0
	s_waitcnt lgkmcnt(0)
	s_barrier
	s_and_saveexec_b64 s[0:1], vcc
	s_cbranch_execz .LBB85_25
; %bb.24:
	ds_read2_b64 v[10:13], v9 offset1:20
	s_waitcnt lgkmcnt(0)
	v_add_f32_e32 v7, v12, v10
	v_add_f32_e32 v8, v13, v11
	ds_write_b64 v9, v[7:8]
.LBB85_25:
	s_or_b64 exec, exec, s[0:1]
	v_cmp_lt_u32_e32 vcc, 9, v0
	s_waitcnt lgkmcnt(0)
	s_and_saveexec_b64 s[0:1], vcc
	s_xor_b64 s[0:1], exec, s[0:1]
; %bb.26:
                                        ; implicit-def: $vgpr9
; %bb.27:
	s_andn2_saveexec_b64 s[0:1], s[0:1]
	s_cbranch_execz .LBB85_29
; %bb.28:
	ds_read2_b64 v[5:8], v9 offset1:10
	s_waitcnt lgkmcnt(0)
	v_add_f32_e32 v5, v7, v5
	v_add_f32_e32 v6, v8, v6
	ds_write_b64 v9, v[5:6]
	s_waitcnt lgkmcnt(0)
	ds_read_b64 v[5:6], v9
.LBB85_29:
	s_or_b64 exec, exec, s[0:1]
	s_waitcnt lgkmcnt(0)
	v_mov_b32_e32 v8, v6
	v_mov_b32_e32 v7, v5
.LBB85_30:
	v_cmp_gt_u32_e32 vcc, 10, v0
	s_and_b64 exec, exec, vcc
	s_cbranch_execz .LBB85_35
; %bb.31:
	v_cmp_eq_f32_e32 vcc, 0, v1
	v_cmp_eq_f32_e64 s[0:1], 0, v2
	s_waitcnt lgkmcnt(0)
	v_mul_f32_e64 v5, v8, -v4
	v_mul_f32_e32 v6, v3, v8
	s_and_b64 s[0:1], vcc, s[0:1]
	v_fmac_f32_e32 v5, v3, v7
	v_fmac_f32_e32 v6, v4, v7
	s_and_saveexec_b64 s[2:3], s[0:1]
	s_xor_b64 s[0:1], exec, s[2:3]
	s_cbranch_execz .LBB85_33
; %bb.32:
	v_mad_u64_u32 v[0:1], s[2:3], s6, 10, v[0:1]
	v_mov_b32_e32 v1, 0
	v_mov_b32_e32 v2, s9
	v_lshlrev_b64 v[0:1], 3, v[0:1]
	v_add_co_u32_e32 v0, vcc, s8, v0
	v_addc_co_u32_e32 v1, vcc, v2, v1, vcc
	global_store_dwordx2 v[0:1], v[5:6], off
                                        ; implicit-def: $vgpr0
                                        ; implicit-def: $vgpr1_vgpr2
                                        ; implicit-def: $vgpr5
.LBB85_33:
	s_andn2_saveexec_b64 s[0:1], s[0:1]
	s_cbranch_execz .LBB85_35
; %bb.34:
	v_mad_u64_u32 v[3:4], s[0:1], s6, 10, v[0:1]
	v_mov_b32_e32 v4, 0
	v_mov_b32_e32 v0, s9
	v_lshlrev_b64 v[3:4], 3, v[3:4]
	v_add_co_u32_e32 v3, vcc, s8, v3
	v_addc_co_u32_e32 v4, vcc, v0, v4, vcc
	global_load_dwordx2 v[7:8], v[3:4], off
	s_waitcnt vmcnt(0)
	v_fmac_f32_e32 v5, v1, v7
	v_fmac_f32_e32 v6, v2, v7
	v_fma_f32 v5, -v2, v8, v5
	v_fmac_f32_e32 v6, v1, v8
	global_store_dwordx2 v[3:4], v[5:6], off
.LBB85_35:
	s_endpgm
	.section	.rodata,"a",@progbits
	.p2align	6, 0x0
	.amdhsa_kernel _ZN9rocsparseL22gebsrmvn_mxn_16_kernelILj80ELj10ELj8E21rocsparse_complex_numIfEEEvi20rocsparse_direction_NS_24const_host_device_scalarIT2_EEPKiS8_PKS5_iiSA_S6_PS5_21rocsparse_index_base_b
		.amdhsa_group_segment_fixed_size 640
		.amdhsa_private_segment_fixed_size 0
		.amdhsa_kernarg_size 80
		.amdhsa_user_sgpr_count 6
		.amdhsa_user_sgpr_private_segment_buffer 1
		.amdhsa_user_sgpr_dispatch_ptr 0
		.amdhsa_user_sgpr_queue_ptr 0
		.amdhsa_user_sgpr_kernarg_segment_ptr 1
		.amdhsa_user_sgpr_dispatch_id 0
		.amdhsa_user_sgpr_flat_scratch_init 0
		.amdhsa_user_sgpr_private_segment_size 0
		.amdhsa_uses_dynamic_stack 0
		.amdhsa_system_sgpr_private_segment_wavefront_offset 0
		.amdhsa_system_sgpr_workgroup_id_x 1
		.amdhsa_system_sgpr_workgroup_id_y 0
		.amdhsa_system_sgpr_workgroup_id_z 0
		.amdhsa_system_sgpr_workgroup_info 0
		.amdhsa_system_vgpr_workitem_id 0
		.amdhsa_next_free_vgpr 17
		.amdhsa_next_free_sgpr 18
		.amdhsa_reserve_vcc 1
		.amdhsa_reserve_flat_scratch 0
		.amdhsa_float_round_mode_32 0
		.amdhsa_float_round_mode_16_64 0
		.amdhsa_float_denorm_mode_32 3
		.amdhsa_float_denorm_mode_16_64 3
		.amdhsa_dx10_clamp 1
		.amdhsa_ieee_mode 1
		.amdhsa_fp16_overflow 0
		.amdhsa_exception_fp_ieee_invalid_op 0
		.amdhsa_exception_fp_denorm_src 0
		.amdhsa_exception_fp_ieee_div_zero 0
		.amdhsa_exception_fp_ieee_overflow 0
		.amdhsa_exception_fp_ieee_underflow 0
		.amdhsa_exception_fp_ieee_inexact 0
		.amdhsa_exception_int_div_zero 0
	.end_amdhsa_kernel
	.section	.text._ZN9rocsparseL22gebsrmvn_mxn_16_kernelILj80ELj10ELj8E21rocsparse_complex_numIfEEEvi20rocsparse_direction_NS_24const_host_device_scalarIT2_EEPKiS8_PKS5_iiSA_S6_PS5_21rocsparse_index_base_b,"axG",@progbits,_ZN9rocsparseL22gebsrmvn_mxn_16_kernelILj80ELj10ELj8E21rocsparse_complex_numIfEEEvi20rocsparse_direction_NS_24const_host_device_scalarIT2_EEPKiS8_PKS5_iiSA_S6_PS5_21rocsparse_index_base_b,comdat
.Lfunc_end85:
	.size	_ZN9rocsparseL22gebsrmvn_mxn_16_kernelILj80ELj10ELj8E21rocsparse_complex_numIfEEEvi20rocsparse_direction_NS_24const_host_device_scalarIT2_EEPKiS8_PKS5_iiSA_S6_PS5_21rocsparse_index_base_b, .Lfunc_end85-_ZN9rocsparseL22gebsrmvn_mxn_16_kernelILj80ELj10ELj8E21rocsparse_complex_numIfEEEvi20rocsparse_direction_NS_24const_host_device_scalarIT2_EEPKiS8_PKS5_iiSA_S6_PS5_21rocsparse_index_base_b
                                        ; -- End function
	.set _ZN9rocsparseL22gebsrmvn_mxn_16_kernelILj80ELj10ELj8E21rocsparse_complex_numIfEEEvi20rocsparse_direction_NS_24const_host_device_scalarIT2_EEPKiS8_PKS5_iiSA_S6_PS5_21rocsparse_index_base_b.num_vgpr, 17
	.set _ZN9rocsparseL22gebsrmvn_mxn_16_kernelILj80ELj10ELj8E21rocsparse_complex_numIfEEEvi20rocsparse_direction_NS_24const_host_device_scalarIT2_EEPKiS8_PKS5_iiSA_S6_PS5_21rocsparse_index_base_b.num_agpr, 0
	.set _ZN9rocsparseL22gebsrmvn_mxn_16_kernelILj80ELj10ELj8E21rocsparse_complex_numIfEEEvi20rocsparse_direction_NS_24const_host_device_scalarIT2_EEPKiS8_PKS5_iiSA_S6_PS5_21rocsparse_index_base_b.numbered_sgpr, 18
	.set _ZN9rocsparseL22gebsrmvn_mxn_16_kernelILj80ELj10ELj8E21rocsparse_complex_numIfEEEvi20rocsparse_direction_NS_24const_host_device_scalarIT2_EEPKiS8_PKS5_iiSA_S6_PS5_21rocsparse_index_base_b.num_named_barrier, 0
	.set _ZN9rocsparseL22gebsrmvn_mxn_16_kernelILj80ELj10ELj8E21rocsparse_complex_numIfEEEvi20rocsparse_direction_NS_24const_host_device_scalarIT2_EEPKiS8_PKS5_iiSA_S6_PS5_21rocsparse_index_base_b.private_seg_size, 0
	.set _ZN9rocsparseL22gebsrmvn_mxn_16_kernelILj80ELj10ELj8E21rocsparse_complex_numIfEEEvi20rocsparse_direction_NS_24const_host_device_scalarIT2_EEPKiS8_PKS5_iiSA_S6_PS5_21rocsparse_index_base_b.uses_vcc, 1
	.set _ZN9rocsparseL22gebsrmvn_mxn_16_kernelILj80ELj10ELj8E21rocsparse_complex_numIfEEEvi20rocsparse_direction_NS_24const_host_device_scalarIT2_EEPKiS8_PKS5_iiSA_S6_PS5_21rocsparse_index_base_b.uses_flat_scratch, 0
	.set _ZN9rocsparseL22gebsrmvn_mxn_16_kernelILj80ELj10ELj8E21rocsparse_complex_numIfEEEvi20rocsparse_direction_NS_24const_host_device_scalarIT2_EEPKiS8_PKS5_iiSA_S6_PS5_21rocsparse_index_base_b.has_dyn_sized_stack, 0
	.set _ZN9rocsparseL22gebsrmvn_mxn_16_kernelILj80ELj10ELj8E21rocsparse_complex_numIfEEEvi20rocsparse_direction_NS_24const_host_device_scalarIT2_EEPKiS8_PKS5_iiSA_S6_PS5_21rocsparse_index_base_b.has_recursion, 0
	.set _ZN9rocsparseL22gebsrmvn_mxn_16_kernelILj80ELj10ELj8E21rocsparse_complex_numIfEEEvi20rocsparse_direction_NS_24const_host_device_scalarIT2_EEPKiS8_PKS5_iiSA_S6_PS5_21rocsparse_index_base_b.has_indirect_call, 0
	.section	.AMDGPU.csdata,"",@progbits
; Kernel info:
; codeLenInByte = 1116
; TotalNumSgprs: 22
; NumVgprs: 17
; ScratchSize: 0
; MemoryBound: 0
; FloatMode: 240
; IeeeMode: 1
; LDSByteSize: 640 bytes/workgroup (compile time only)
; SGPRBlocks: 2
; VGPRBlocks: 4
; NumSGPRsForWavesPerEU: 22
; NumVGPRsForWavesPerEU: 17
; Occupancy: 10
; WaveLimiterHint : 1
; COMPUTE_PGM_RSRC2:SCRATCH_EN: 0
; COMPUTE_PGM_RSRC2:USER_SGPR: 6
; COMPUTE_PGM_RSRC2:TRAP_HANDLER: 0
; COMPUTE_PGM_RSRC2:TGID_X_EN: 1
; COMPUTE_PGM_RSRC2:TGID_Y_EN: 0
; COMPUTE_PGM_RSRC2:TGID_Z_EN: 0
; COMPUTE_PGM_RSRC2:TIDIG_COMP_CNT: 0
	.section	.text._ZN9rocsparseL22gebsrmvn_mxn_16_kernelILj55ELj11ELj1E21rocsparse_complex_numIfEEEvi20rocsparse_direction_NS_24const_host_device_scalarIT2_EEPKiS8_PKS5_iiSA_S6_PS5_21rocsparse_index_base_b,"axG",@progbits,_ZN9rocsparseL22gebsrmvn_mxn_16_kernelILj55ELj11ELj1E21rocsparse_complex_numIfEEEvi20rocsparse_direction_NS_24const_host_device_scalarIT2_EEPKiS8_PKS5_iiSA_S6_PS5_21rocsparse_index_base_b,comdat
	.globl	_ZN9rocsparseL22gebsrmvn_mxn_16_kernelILj55ELj11ELj1E21rocsparse_complex_numIfEEEvi20rocsparse_direction_NS_24const_host_device_scalarIT2_EEPKiS8_PKS5_iiSA_S6_PS5_21rocsparse_index_base_b ; -- Begin function _ZN9rocsparseL22gebsrmvn_mxn_16_kernelILj55ELj11ELj1E21rocsparse_complex_numIfEEEvi20rocsparse_direction_NS_24const_host_device_scalarIT2_EEPKiS8_PKS5_iiSA_S6_PS5_21rocsparse_index_base_b
	.p2align	8
	.type	_ZN9rocsparseL22gebsrmvn_mxn_16_kernelILj55ELj11ELj1E21rocsparse_complex_numIfEEEvi20rocsparse_direction_NS_24const_host_device_scalarIT2_EEPKiS8_PKS5_iiSA_S6_PS5_21rocsparse_index_base_b,@function
_ZN9rocsparseL22gebsrmvn_mxn_16_kernelILj55ELj11ELj1E21rocsparse_complex_numIfEEEvi20rocsparse_direction_NS_24const_host_device_scalarIT2_EEPKiS8_PKS5_iiSA_S6_PS5_21rocsparse_index_base_b: ; @_ZN9rocsparseL22gebsrmvn_mxn_16_kernelILj55ELj11ELj1E21rocsparse_complex_numIfEEEvi20rocsparse_direction_NS_24const_host_device_scalarIT2_EEPKiS8_PKS5_iiSA_S6_PS5_21rocsparse_index_base_b
; %bb.0:
	s_load_dwordx2 s[0:1], s[4:5], 0x8
	s_load_dwordx2 s[2:3], s[4:5], 0x38
	;; [unrolled: 1-line block ×3, first 2 shown]
	s_add_u32 s7, s4, 8
	s_addc_u32 s8, s5, 0
	s_add_u32 s9, s4, 56
	s_addc_u32 s12, s5, 0
	s_waitcnt lgkmcnt(0)
	s_bitcmp1_b32 s11, 0
	s_cselect_b32 s1, s8, s1
	s_cselect_b32 s0, s7, s0
	v_mov_b32_e32 v1, s0
	v_mov_b32_e32 v2, s1
	flat_load_dwordx2 v[3:4], v[1:2]
	s_cselect_b32 s0, s12, s3
	s_cselect_b32 s1, s9, s2
	v_mov_b32_e32 v1, s1
	v_mov_b32_e32 v2, s0
	flat_load_dwordx2 v[1:2], v[1:2]
	s_waitcnt vmcnt(0) lgkmcnt(0)
	v_cmp_eq_f32_e32 vcc, 0, v3
	v_cmp_eq_f32_e64 s[0:1], 0, v4
	s_and_b64 s[8:9], vcc, s[0:1]
	s_mov_b64 s[0:1], -1
	s_and_saveexec_b64 s[2:3], s[8:9]
; %bb.1:
	v_cmp_neq_f32_e32 vcc, 1.0, v1
	v_cmp_neq_f32_e64 s[0:1], 0, v2
	s_or_b64 s[0:1], vcc, s[0:1]
	s_orn2_b64 s[0:1], s[0:1], exec
; %bb.2:
	s_or_b64 exec, exec, s[2:3]
	s_and_saveexec_b64 s[2:3], s[0:1]
	s_cbranch_execz .LBB86_22
; %bb.3:
	s_load_dwordx2 s[0:1], s[4:5], 0x10
	s_ashr_i32 s7, s6, 31
	s_lshl_b64 s[2:3], s[6:7], 2
	s_waitcnt lgkmcnt(0)
	s_add_u32 s0, s0, s2
	s_addc_u32 s1, s1, s3
	s_load_dwordx2 s[14:15], s[0:1], 0x0
	s_waitcnt lgkmcnt(0)
	s_cmp_lt_i32 s14, s15
	s_cbranch_scc1 .LBB86_5
; %bb.4:
	s_mov_b64 s[0:1], 0
	s_branch .LBB86_6
.LBB86_5:
	s_mov_b64 s[0:1], -1
.LBB86_6:
	s_load_dwordx2 s[8:9], s[4:5], 0x40
	v_mov_b32_e32 v6, 0
	s_andn2_b64 vcc, exec, s[0:1]
	v_mov_b32_e32 v5, 0
	s_cbranch_vccnz .LBB86_11
; %bb.7:
	s_load_dwordx4 s[0:3], s[4:5], 0x18
	s_load_dwordx2 s[12:13], s[4:5], 0x30
	v_mad_u64_u32 v[5:6], s[4:5], s14, 11, v[0:1]
	s_mul_i32 s4, s10, 11
	v_mov_b32_e32 v8, 0
	s_sub_i32 s7, s15, s10
	s_sub_i32 s11, s14, s10
	v_mul_u32_u24_e32 v11, 0x1746, v0
	v_subrev_u32_e32 v7, s4, v5
	v_mov_b32_e32 v6, v8
	v_mov_b32_e32 v5, v8
	s_branch .LBB86_9
.LBB86_8:                               ;   in Loop: Header=BB86_9 Depth=1
	s_or_b64 exec, exec, s[4:5]
	s_add_i32 s11, s11, 5
	s_cmp_ge_i32 s11, s7
	v_add_u32_e32 v7, 55, v7
	s_cbranch_scc1 .LBB86_11
.LBB86_9:                               ; =>This Inner Loop Header: Depth=1
	v_add_u32_sdwa v9, v11, s11 dst_sel:DWORD dst_unused:UNUSED_PAD src0_sel:WORD_1 src1_sel:DWORD
	v_cmp_gt_i32_e32 vcc, s7, v9
	s_and_saveexec_b64 s[4:5], vcc
	s_cbranch_execz .LBB86_8
; %bb.10:                               ;   in Loop: Header=BB86_9 Depth=1
	v_ashrrev_i32_e32 v10, 31, v9
	v_lshlrev_b64 v[9:10], 2, v[9:10]
	s_waitcnt lgkmcnt(0)
	v_mov_b32_e32 v12, s1
	v_add_co_u32_e32 v9, vcc, s0, v9
	v_addc_co_u32_e32 v10, vcc, v12, v10, vcc
	global_load_dword v12, v[9:10], off
	v_lshlrev_b64 v[9:10], 3, v[7:8]
	v_mov_b32_e32 v13, s3
	v_add_co_u32_e32 v9, vcc, s2, v9
	v_addc_co_u32_e32 v10, vcc, v13, v10, vcc
	v_mov_b32_e32 v14, s13
	global_load_dwordx2 v[9:10], v[9:10], off
	s_waitcnt vmcnt(1)
	v_subrev_u32_e32 v12, s10, v12
	v_ashrrev_i32_e32 v13, 31, v12
	v_lshlrev_b64 v[12:13], 3, v[12:13]
	v_add_co_u32_e32 v12, vcc, s12, v12
	v_addc_co_u32_e32 v13, vcc, v14, v13, vcc
	global_load_dwordx2 v[12:13], v[12:13], off
	s_waitcnt vmcnt(0)
	v_fmac_f32_e32 v5, v9, v12
	v_fmac_f32_e32 v6, v10, v12
	v_fma_f32 v5, -v10, v13, v5
	v_fmac_f32_e32 v6, v9, v13
	s_branch .LBB86_8
.LBB86_11:
	v_lshlrev_b32_e32 v7, 3, v0
	v_cmp_gt_u32_e32 vcc, 11, v0
	ds_write_b64 v7, v[5:6]
	s_waitcnt lgkmcnt(0)
	; wave barrier
	s_and_saveexec_b64 s[0:1], vcc
	s_cbranch_execz .LBB86_13
; %bb.12:
	ds_read2_b64 v[8:11], v7 offset1:44
	s_waitcnt lgkmcnt(0)
	v_add_f32_e32 v5, v10, v8
	v_add_f32_e32 v6, v11, v9
	ds_write_b64 v7, v[5:6]
.LBB86_13:
	s_or_b64 exec, exec, s[0:1]
	v_cmp_gt_u32_e64 s[0:1], 22, v0
	s_waitcnt lgkmcnt(0)
	; wave barrier
	s_and_saveexec_b64 s[2:3], s[0:1]
	s_cbranch_execz .LBB86_15
; %bb.14:
	ds_read2_b64 v[8:11], v7 offset1:22
	s_waitcnt lgkmcnt(0)
	v_add_f32_e32 v5, v10, v8
	v_add_f32_e32 v6, v11, v9
	ds_write_b64 v7, v[5:6]
.LBB86_15:
	s_or_b64 exec, exec, s[2:3]
	s_waitcnt lgkmcnt(0)
	; wave barrier
	s_and_saveexec_b64 s[0:1], vcc
	s_cbranch_execz .LBB86_17
; %bb.16:
	ds_read2_b64 v[8:11], v7 offset1:11
	s_waitcnt lgkmcnt(0)
	v_add_f32_e32 v5, v10, v8
	v_add_f32_e32 v6, v11, v9
	ds_write_b64 v7, v[5:6]
.LBB86_17:
	s_or_b64 exec, exec, s[0:1]
	s_waitcnt lgkmcnt(0)
	; wave barrier
	s_and_b64 exec, exec, vcc
	s_cbranch_execz .LBB86_22
; %bb.18:
	ds_read_b64 v[7:8], v7
	v_cmp_eq_f32_e32 vcc, 0, v1
	v_cmp_eq_f32_e64 s[0:1], 0, v2
	s_and_b64 s[0:1], vcc, s[0:1]
	s_waitcnt lgkmcnt(0)
	v_mul_f32_e64 v5, v8, -v4
	v_mul_f32_e32 v6, v3, v8
	v_fmac_f32_e32 v5, v3, v7
	v_fmac_f32_e32 v6, v4, v7
	s_and_saveexec_b64 s[2:3], s[0:1]
	s_xor_b64 s[0:1], exec, s[2:3]
	s_cbranch_execz .LBB86_20
; %bb.19:
	v_mad_u64_u32 v[0:1], s[2:3], s6, 11, v[0:1]
	v_mov_b32_e32 v1, 0
	v_mov_b32_e32 v2, s9
	v_lshlrev_b64 v[0:1], 3, v[0:1]
	v_add_co_u32_e32 v0, vcc, s8, v0
	v_addc_co_u32_e32 v1, vcc, v2, v1, vcc
	global_store_dwordx2 v[0:1], v[5:6], off
                                        ; implicit-def: $vgpr0
                                        ; implicit-def: $vgpr1_vgpr2
                                        ; implicit-def: $vgpr5
.LBB86_20:
	s_andn2_saveexec_b64 s[0:1], s[0:1]
	s_cbranch_execz .LBB86_22
; %bb.21:
	v_mad_u64_u32 v[3:4], s[0:1], s6, 11, v[0:1]
	v_mov_b32_e32 v4, 0
	v_mov_b32_e32 v0, s9
	v_lshlrev_b64 v[3:4], 3, v[3:4]
	v_add_co_u32_e32 v3, vcc, s8, v3
	v_addc_co_u32_e32 v4, vcc, v0, v4, vcc
	global_load_dwordx2 v[7:8], v[3:4], off
	s_waitcnt vmcnt(0)
	v_fmac_f32_e32 v5, v1, v7
	v_fmac_f32_e32 v6, v2, v7
	v_fma_f32 v5, -v2, v8, v5
	v_fmac_f32_e32 v6, v1, v8
	global_store_dwordx2 v[3:4], v[5:6], off
.LBB86_22:
	s_endpgm
	.section	.rodata,"a",@progbits
	.p2align	6, 0x0
	.amdhsa_kernel _ZN9rocsparseL22gebsrmvn_mxn_16_kernelILj55ELj11ELj1E21rocsparse_complex_numIfEEEvi20rocsparse_direction_NS_24const_host_device_scalarIT2_EEPKiS8_PKS5_iiSA_S6_PS5_21rocsparse_index_base_b
		.amdhsa_group_segment_fixed_size 440
		.amdhsa_private_segment_fixed_size 0
		.amdhsa_kernarg_size 80
		.amdhsa_user_sgpr_count 6
		.amdhsa_user_sgpr_private_segment_buffer 1
		.amdhsa_user_sgpr_dispatch_ptr 0
		.amdhsa_user_sgpr_queue_ptr 0
		.amdhsa_user_sgpr_kernarg_segment_ptr 1
		.amdhsa_user_sgpr_dispatch_id 0
		.amdhsa_user_sgpr_flat_scratch_init 0
		.amdhsa_user_sgpr_private_segment_size 0
		.amdhsa_uses_dynamic_stack 0
		.amdhsa_system_sgpr_private_segment_wavefront_offset 0
		.amdhsa_system_sgpr_workgroup_id_x 1
		.amdhsa_system_sgpr_workgroup_id_y 0
		.amdhsa_system_sgpr_workgroup_id_z 0
		.amdhsa_system_sgpr_workgroup_info 0
		.amdhsa_system_vgpr_workitem_id 0
		.amdhsa_next_free_vgpr 15
		.amdhsa_next_free_sgpr 16
		.amdhsa_reserve_vcc 1
		.amdhsa_reserve_flat_scratch 0
		.amdhsa_float_round_mode_32 0
		.amdhsa_float_round_mode_16_64 0
		.amdhsa_float_denorm_mode_32 3
		.amdhsa_float_denorm_mode_16_64 3
		.amdhsa_dx10_clamp 1
		.amdhsa_ieee_mode 1
		.amdhsa_fp16_overflow 0
		.amdhsa_exception_fp_ieee_invalid_op 0
		.amdhsa_exception_fp_denorm_src 0
		.amdhsa_exception_fp_ieee_div_zero 0
		.amdhsa_exception_fp_ieee_overflow 0
		.amdhsa_exception_fp_ieee_underflow 0
		.amdhsa_exception_fp_ieee_inexact 0
		.amdhsa_exception_int_div_zero 0
	.end_amdhsa_kernel
	.section	.text._ZN9rocsparseL22gebsrmvn_mxn_16_kernelILj55ELj11ELj1E21rocsparse_complex_numIfEEEvi20rocsparse_direction_NS_24const_host_device_scalarIT2_EEPKiS8_PKS5_iiSA_S6_PS5_21rocsparse_index_base_b,"axG",@progbits,_ZN9rocsparseL22gebsrmvn_mxn_16_kernelILj55ELj11ELj1E21rocsparse_complex_numIfEEEvi20rocsparse_direction_NS_24const_host_device_scalarIT2_EEPKiS8_PKS5_iiSA_S6_PS5_21rocsparse_index_base_b,comdat
.Lfunc_end86:
	.size	_ZN9rocsparseL22gebsrmvn_mxn_16_kernelILj55ELj11ELj1E21rocsparse_complex_numIfEEEvi20rocsparse_direction_NS_24const_host_device_scalarIT2_EEPKiS8_PKS5_iiSA_S6_PS5_21rocsparse_index_base_b, .Lfunc_end86-_ZN9rocsparseL22gebsrmvn_mxn_16_kernelILj55ELj11ELj1E21rocsparse_complex_numIfEEEvi20rocsparse_direction_NS_24const_host_device_scalarIT2_EEPKiS8_PKS5_iiSA_S6_PS5_21rocsparse_index_base_b
                                        ; -- End function
	.set _ZN9rocsparseL22gebsrmvn_mxn_16_kernelILj55ELj11ELj1E21rocsparse_complex_numIfEEEvi20rocsparse_direction_NS_24const_host_device_scalarIT2_EEPKiS8_PKS5_iiSA_S6_PS5_21rocsparse_index_base_b.num_vgpr, 15
	.set _ZN9rocsparseL22gebsrmvn_mxn_16_kernelILj55ELj11ELj1E21rocsparse_complex_numIfEEEvi20rocsparse_direction_NS_24const_host_device_scalarIT2_EEPKiS8_PKS5_iiSA_S6_PS5_21rocsparse_index_base_b.num_agpr, 0
	.set _ZN9rocsparseL22gebsrmvn_mxn_16_kernelILj55ELj11ELj1E21rocsparse_complex_numIfEEEvi20rocsparse_direction_NS_24const_host_device_scalarIT2_EEPKiS8_PKS5_iiSA_S6_PS5_21rocsparse_index_base_b.numbered_sgpr, 16
	.set _ZN9rocsparseL22gebsrmvn_mxn_16_kernelILj55ELj11ELj1E21rocsparse_complex_numIfEEEvi20rocsparse_direction_NS_24const_host_device_scalarIT2_EEPKiS8_PKS5_iiSA_S6_PS5_21rocsparse_index_base_b.num_named_barrier, 0
	.set _ZN9rocsparseL22gebsrmvn_mxn_16_kernelILj55ELj11ELj1E21rocsparse_complex_numIfEEEvi20rocsparse_direction_NS_24const_host_device_scalarIT2_EEPKiS8_PKS5_iiSA_S6_PS5_21rocsparse_index_base_b.private_seg_size, 0
	.set _ZN9rocsparseL22gebsrmvn_mxn_16_kernelILj55ELj11ELj1E21rocsparse_complex_numIfEEEvi20rocsparse_direction_NS_24const_host_device_scalarIT2_EEPKiS8_PKS5_iiSA_S6_PS5_21rocsparse_index_base_b.uses_vcc, 1
	.set _ZN9rocsparseL22gebsrmvn_mxn_16_kernelILj55ELj11ELj1E21rocsparse_complex_numIfEEEvi20rocsparse_direction_NS_24const_host_device_scalarIT2_EEPKiS8_PKS5_iiSA_S6_PS5_21rocsparse_index_base_b.uses_flat_scratch, 0
	.set _ZN9rocsparseL22gebsrmvn_mxn_16_kernelILj55ELj11ELj1E21rocsparse_complex_numIfEEEvi20rocsparse_direction_NS_24const_host_device_scalarIT2_EEPKiS8_PKS5_iiSA_S6_PS5_21rocsparse_index_base_b.has_dyn_sized_stack, 0
	.set _ZN9rocsparseL22gebsrmvn_mxn_16_kernelILj55ELj11ELj1E21rocsparse_complex_numIfEEEvi20rocsparse_direction_NS_24const_host_device_scalarIT2_EEPKiS8_PKS5_iiSA_S6_PS5_21rocsparse_index_base_b.has_recursion, 0
	.set _ZN9rocsparseL22gebsrmvn_mxn_16_kernelILj55ELj11ELj1E21rocsparse_complex_numIfEEEvi20rocsparse_direction_NS_24const_host_device_scalarIT2_EEPKiS8_PKS5_iiSA_S6_PS5_21rocsparse_index_base_b.has_indirect_call, 0
	.section	.AMDGPU.csdata,"",@progbits
; Kernel info:
; codeLenInByte = 828
; TotalNumSgprs: 20
; NumVgprs: 15
; ScratchSize: 0
; MemoryBound: 0
; FloatMode: 240
; IeeeMode: 1
; LDSByteSize: 440 bytes/workgroup (compile time only)
; SGPRBlocks: 2
; VGPRBlocks: 3
; NumSGPRsForWavesPerEU: 20
; NumVGPRsForWavesPerEU: 15
; Occupancy: 10
; WaveLimiterHint : 1
; COMPUTE_PGM_RSRC2:SCRATCH_EN: 0
; COMPUTE_PGM_RSRC2:USER_SGPR: 6
; COMPUTE_PGM_RSRC2:TRAP_HANDLER: 0
; COMPUTE_PGM_RSRC2:TGID_X_EN: 1
; COMPUTE_PGM_RSRC2:TGID_Y_EN: 0
; COMPUTE_PGM_RSRC2:TGID_Z_EN: 0
; COMPUTE_PGM_RSRC2:TIDIG_COMP_CNT: 0
	.section	.text._ZN9rocsparseL22gebsrmvn_mxn_16_kernelILj44ELj11ELj2E21rocsparse_complex_numIfEEEvi20rocsparse_direction_NS_24const_host_device_scalarIT2_EEPKiS8_PKS5_iiSA_S6_PS5_21rocsparse_index_base_b,"axG",@progbits,_ZN9rocsparseL22gebsrmvn_mxn_16_kernelILj44ELj11ELj2E21rocsparse_complex_numIfEEEvi20rocsparse_direction_NS_24const_host_device_scalarIT2_EEPKiS8_PKS5_iiSA_S6_PS5_21rocsparse_index_base_b,comdat
	.globl	_ZN9rocsparseL22gebsrmvn_mxn_16_kernelILj44ELj11ELj2E21rocsparse_complex_numIfEEEvi20rocsparse_direction_NS_24const_host_device_scalarIT2_EEPKiS8_PKS5_iiSA_S6_PS5_21rocsparse_index_base_b ; -- Begin function _ZN9rocsparseL22gebsrmvn_mxn_16_kernelILj44ELj11ELj2E21rocsparse_complex_numIfEEEvi20rocsparse_direction_NS_24const_host_device_scalarIT2_EEPKiS8_PKS5_iiSA_S6_PS5_21rocsparse_index_base_b
	.p2align	8
	.type	_ZN9rocsparseL22gebsrmvn_mxn_16_kernelILj44ELj11ELj2E21rocsparse_complex_numIfEEEvi20rocsparse_direction_NS_24const_host_device_scalarIT2_EEPKiS8_PKS5_iiSA_S6_PS5_21rocsparse_index_base_b,@function
_ZN9rocsparseL22gebsrmvn_mxn_16_kernelILj44ELj11ELj2E21rocsparse_complex_numIfEEEvi20rocsparse_direction_NS_24const_host_device_scalarIT2_EEPKiS8_PKS5_iiSA_S6_PS5_21rocsparse_index_base_b: ; @_ZN9rocsparseL22gebsrmvn_mxn_16_kernelILj44ELj11ELj2E21rocsparse_complex_numIfEEEvi20rocsparse_direction_NS_24const_host_device_scalarIT2_EEPKiS8_PKS5_iiSA_S6_PS5_21rocsparse_index_base_b
; %bb.0:
	s_load_dwordx2 s[0:1], s[4:5], 0x8
	s_load_dwordx2 s[2:3], s[4:5], 0x38
	;; [unrolled: 1-line block ×3, first 2 shown]
	s_add_u32 s7, s4, 8
	s_addc_u32 s8, s5, 0
	s_add_u32 s9, s4, 56
	s_addc_u32 s12, s5, 0
	s_waitcnt lgkmcnt(0)
	s_bitcmp1_b32 s11, 0
	s_cselect_b32 s1, s8, s1
	s_cselect_b32 s0, s7, s0
	v_mov_b32_e32 v1, s0
	v_mov_b32_e32 v2, s1
	flat_load_dwordx2 v[3:4], v[1:2]
	s_cselect_b32 s0, s12, s3
	s_cselect_b32 s1, s9, s2
	v_mov_b32_e32 v1, s1
	v_mov_b32_e32 v2, s0
	flat_load_dwordx2 v[1:2], v[1:2]
	s_waitcnt vmcnt(0) lgkmcnt(0)
	v_cmp_eq_f32_e32 vcc, 0, v3
	v_cmp_eq_f32_e64 s[0:1], 0, v4
	s_and_b64 s[8:9], vcc, s[0:1]
	s_mov_b64 s[0:1], -1
	s_and_saveexec_b64 s[2:3], s[8:9]
; %bb.1:
	v_cmp_neq_f32_e32 vcc, 1.0, v1
	v_cmp_neq_f32_e64 s[0:1], 0, v2
	s_or_b64 s[0:1], vcc, s[0:1]
	s_orn2_b64 s[0:1], s[0:1], exec
; %bb.2:
	s_or_b64 exec, exec, s[2:3]
	s_and_saveexec_b64 s[2:3], s[0:1]
	s_cbranch_execz .LBB87_29
; %bb.3:
	s_load_dword s2, s[4:5], 0x4
	s_load_dwordx2 s[0:1], s[4:5], 0x10
	v_and_b32_e32 v11, 1, v0
	v_mov_b32_e32 v12, v11
	s_waitcnt lgkmcnt(0)
	s_cmp_lg_u32 s2, 1
	s_cselect_b64 s[12:13], -1, 0
	s_and_b64 vcc, exec, s[12:13]
	s_cbranch_vccnz .LBB87_5
; %bb.4:
	v_mul_u32_u24_e32 v5, 0x1746, v0
	v_bfe_u32 v12, v5, 16, 1
.LBB87_5:
	s_ashr_i32 s7, s6, 31
	s_lshl_b64 s[2:3], s[6:7], 2
	s_add_u32 s0, s0, s2
	s_addc_u32 s1, s1, s3
	s_load_dwordx2 s[16:17], s[0:1], 0x0
	s_load_dwordx2 s[8:9], s[4:5], 0x40
	v_mov_b32_e32 v6, 0
	v_mov_b32_e32 v5, 0
	s_waitcnt lgkmcnt(0)
	s_cmp_ge_i32 s16, s17
	s_cbranch_scc1 .LBB87_10
; %bb.6:
	s_load_dwordx4 s[0:3], s[4:5], 0x18
	s_load_dwordx2 s[14:15], s[4:5], 0x30
	v_mad_u64_u32 v[5:6], s[4:5], s16, 22, v[0:1]
	s_mul_i32 s4, s10, 22
	v_mov_b32_e32 v8, 0
	s_sub_i32 s7, s17, s10
	s_sub_i32 s11, s16, s10
	v_mul_u32_u24_e32 v13, 0xba3, v0
	v_subrev_u32_e32 v7, s4, v5
	v_mov_b32_e32 v6, v8
	v_mov_b32_e32 v5, v8
	s_branch .LBB87_8
.LBB87_7:                               ;   in Loop: Header=BB87_8 Depth=1
	s_or_b64 exec, exec, s[4:5]
	s_add_i32 s11, s11, 2
	s_cmp_ge_i32 s11, s7
	v_add_u32_e32 v7, 44, v7
	s_cbranch_scc1 .LBB87_10
.LBB87_8:                               ; =>This Inner Loop Header: Depth=1
	v_add_u32_sdwa v9, v13, s11 dst_sel:DWORD dst_unused:UNUSED_PAD src0_sel:WORD_1 src1_sel:DWORD
	v_cmp_gt_i32_e32 vcc, s7, v9
	s_and_saveexec_b64 s[4:5], vcc
	s_cbranch_execz .LBB87_7
; %bb.9:                                ;   in Loop: Header=BB87_8 Depth=1
	v_ashrrev_i32_e32 v10, 31, v9
	v_lshlrev_b64 v[9:10], 2, v[9:10]
	s_waitcnt lgkmcnt(0)
	v_mov_b32_e32 v14, s1
	v_add_co_u32_e32 v9, vcc, s0, v9
	v_addc_co_u32_e32 v10, vcc, v14, v10, vcc
	global_load_dword v14, v[9:10], off
	v_lshlrev_b64 v[9:10], 3, v[7:8]
	v_mov_b32_e32 v15, s3
	v_add_co_u32_e32 v9, vcc, s2, v9
	v_addc_co_u32_e32 v10, vcc, v15, v10, vcc
	v_mov_b32_e32 v16, s15
	global_load_dwordx2 v[9:10], v[9:10], off
	s_waitcnt vmcnt(1)
	v_subrev_u32_e32 v14, s10, v14
	v_lshl_or_b32 v14, v14, 1, v12
	v_ashrrev_i32_e32 v15, 31, v14
	v_lshlrev_b64 v[14:15], 3, v[14:15]
	v_add_co_u32_e32 v14, vcc, s14, v14
	v_addc_co_u32_e32 v15, vcc, v16, v15, vcc
	global_load_dwordx2 v[14:15], v[14:15], off
	s_waitcnt vmcnt(0)
	v_fmac_f32_e32 v5, v9, v14
	v_fmac_f32_e32 v6, v10, v14
	v_fma_f32 v5, -v10, v15, v5
	v_fmac_f32_e32 v6, v9, v15
	s_branch .LBB87_7
.LBB87_10:
	v_lshlrev_b32_e32 v9, 3, v0
	v_cmp_gt_u32_e32 vcc, 22, v0
	ds_write_b64 v9, v[5:6]
	s_waitcnt lgkmcnt(0)
	; wave barrier
	s_and_saveexec_b64 s[0:1], vcc
	s_cbranch_execz .LBB87_12
; %bb.11:
	ds_read2_b64 v[12:15], v9 offset1:22
	s_waitcnt lgkmcnt(0)
	v_add_f32_e32 v7, v14, v12
	v_add_f32_e32 v8, v15, v13
	ds_write_b64 v9, v[7:8]
.LBB87_12:
	s_or_b64 exec, exec, s[0:1]
	s_and_b64 vcc, exec, s[12:13]
	s_waitcnt lgkmcnt(0)
	; wave barrier
	s_cbranch_vccz .LBB87_18
; %bb.13:
	v_cmp_eq_u32_e32 vcc, 0, v11
	s_and_saveexec_b64 s[0:1], vcc
	s_cbranch_execz .LBB87_15
; %bb.14:
	ds_read2_b64 v[10:13], v9 offset1:1
	s_waitcnt lgkmcnt(0)
	v_add_f32_e32 v7, v12, v10
	v_add_f32_e32 v8, v13, v11
	ds_write_b64 v9, v[7:8]
.LBB87_15:
	s_or_b64 exec, exec, s[0:1]
	v_cmp_gt_u32_e32 vcc, 11, v0
	v_mov_b32_e32 v8, v6
	v_mov_b32_e32 v7, v5
	s_waitcnt lgkmcnt(0)
	; wave barrier
	s_and_saveexec_b64 s[0:1], vcc
; %bb.16:
	v_lshl_add_u32 v7, v0, 3, v9
	ds_read_b64 v[7:8], v7
; %bb.17:
	s_or_b64 exec, exec, s[0:1]
	s_branch .LBB87_24
.LBB87_18:
                                        ; implicit-def: $vgpr8
	s_cbranch_execz .LBB87_24
; %bb.19:
	v_cmp_lt_u32_e32 vcc, 10, v0
	s_and_saveexec_b64 s[0:1], vcc
	s_xor_b64 s[0:1], exec, s[0:1]
	s_cbranch_execz .LBB87_21
; %bb.20:
	s_waitcnt lgkmcnt(0)
                                        ; implicit-def: $vgpr9
.LBB87_21:
	s_andn2_saveexec_b64 s[0:1], s[0:1]
	s_cbranch_execz .LBB87_23
; %bb.22:
	s_waitcnt lgkmcnt(0)
	ds_read2_b64 v[5:8], v9 offset1:11
	s_waitcnt lgkmcnt(0)
	v_add_f32_e32 v5, v7, v5
	v_add_f32_e32 v6, v8, v6
	ds_write_b64 v9, v[5:6]
	s_waitcnt lgkmcnt(0)
	ds_read_b64 v[5:6], v9
.LBB87_23:
	s_or_b64 exec, exec, s[0:1]
	s_waitcnt lgkmcnt(0)
	v_mov_b32_e32 v7, v5
	v_mov_b32_e32 v8, v6
.LBB87_24:
	v_cmp_gt_u32_e32 vcc, 11, v0
	s_and_b64 exec, exec, vcc
	s_cbranch_execz .LBB87_29
; %bb.25:
	v_cmp_eq_f32_e32 vcc, 0, v1
	v_cmp_eq_f32_e64 s[0:1], 0, v2
	s_waitcnt lgkmcnt(0)
	v_mul_f32_e64 v5, v8, -v4
	v_mul_f32_e32 v6, v3, v8
	s_and_b64 s[0:1], vcc, s[0:1]
	v_fmac_f32_e32 v5, v3, v7
	v_fmac_f32_e32 v6, v4, v7
	s_and_saveexec_b64 s[2:3], s[0:1]
	s_xor_b64 s[0:1], exec, s[2:3]
	s_cbranch_execz .LBB87_27
; %bb.26:
	v_mad_u64_u32 v[0:1], s[2:3], s6, 11, v[0:1]
	v_mov_b32_e32 v1, 0
	v_mov_b32_e32 v2, s9
	v_lshlrev_b64 v[0:1], 3, v[0:1]
	v_add_co_u32_e32 v0, vcc, s8, v0
	v_addc_co_u32_e32 v1, vcc, v2, v1, vcc
	global_store_dwordx2 v[0:1], v[5:6], off
                                        ; implicit-def: $vgpr0
                                        ; implicit-def: $vgpr1_vgpr2
                                        ; implicit-def: $vgpr5
.LBB87_27:
	s_andn2_saveexec_b64 s[0:1], s[0:1]
	s_cbranch_execz .LBB87_29
; %bb.28:
	v_mad_u64_u32 v[3:4], s[0:1], s6, 11, v[0:1]
	v_mov_b32_e32 v4, 0
	v_mov_b32_e32 v0, s9
	v_lshlrev_b64 v[3:4], 3, v[3:4]
	v_add_co_u32_e32 v3, vcc, s8, v3
	v_addc_co_u32_e32 v4, vcc, v0, v4, vcc
	global_load_dwordx2 v[7:8], v[3:4], off
	s_waitcnt vmcnt(0)
	v_fmac_f32_e32 v5, v1, v7
	v_fmac_f32_e32 v6, v2, v7
	v_fma_f32 v5, -v2, v8, v5
	v_fmac_f32_e32 v6, v1, v8
	global_store_dwordx2 v[3:4], v[5:6], off
.LBB87_29:
	s_endpgm
	.section	.rodata,"a",@progbits
	.p2align	6, 0x0
	.amdhsa_kernel _ZN9rocsparseL22gebsrmvn_mxn_16_kernelILj44ELj11ELj2E21rocsparse_complex_numIfEEEvi20rocsparse_direction_NS_24const_host_device_scalarIT2_EEPKiS8_PKS5_iiSA_S6_PS5_21rocsparse_index_base_b
		.amdhsa_group_segment_fixed_size 352
		.amdhsa_private_segment_fixed_size 0
		.amdhsa_kernarg_size 80
		.amdhsa_user_sgpr_count 6
		.amdhsa_user_sgpr_private_segment_buffer 1
		.amdhsa_user_sgpr_dispatch_ptr 0
		.amdhsa_user_sgpr_queue_ptr 0
		.amdhsa_user_sgpr_kernarg_segment_ptr 1
		.amdhsa_user_sgpr_dispatch_id 0
		.amdhsa_user_sgpr_flat_scratch_init 0
		.amdhsa_user_sgpr_private_segment_size 0
		.amdhsa_uses_dynamic_stack 0
		.amdhsa_system_sgpr_private_segment_wavefront_offset 0
		.amdhsa_system_sgpr_workgroup_id_x 1
		.amdhsa_system_sgpr_workgroup_id_y 0
		.amdhsa_system_sgpr_workgroup_id_z 0
		.amdhsa_system_sgpr_workgroup_info 0
		.amdhsa_system_vgpr_workitem_id 0
		.amdhsa_next_free_vgpr 17
		.amdhsa_next_free_sgpr 18
		.amdhsa_reserve_vcc 1
		.amdhsa_reserve_flat_scratch 0
		.amdhsa_float_round_mode_32 0
		.amdhsa_float_round_mode_16_64 0
		.amdhsa_float_denorm_mode_32 3
		.amdhsa_float_denorm_mode_16_64 3
		.amdhsa_dx10_clamp 1
		.amdhsa_ieee_mode 1
		.amdhsa_fp16_overflow 0
		.amdhsa_exception_fp_ieee_invalid_op 0
		.amdhsa_exception_fp_denorm_src 0
		.amdhsa_exception_fp_ieee_div_zero 0
		.amdhsa_exception_fp_ieee_overflow 0
		.amdhsa_exception_fp_ieee_underflow 0
		.amdhsa_exception_fp_ieee_inexact 0
		.amdhsa_exception_int_div_zero 0
	.end_amdhsa_kernel
	.section	.text._ZN9rocsparseL22gebsrmvn_mxn_16_kernelILj44ELj11ELj2E21rocsparse_complex_numIfEEEvi20rocsparse_direction_NS_24const_host_device_scalarIT2_EEPKiS8_PKS5_iiSA_S6_PS5_21rocsparse_index_base_b,"axG",@progbits,_ZN9rocsparseL22gebsrmvn_mxn_16_kernelILj44ELj11ELj2E21rocsparse_complex_numIfEEEvi20rocsparse_direction_NS_24const_host_device_scalarIT2_EEPKiS8_PKS5_iiSA_S6_PS5_21rocsparse_index_base_b,comdat
.Lfunc_end87:
	.size	_ZN9rocsparseL22gebsrmvn_mxn_16_kernelILj44ELj11ELj2E21rocsparse_complex_numIfEEEvi20rocsparse_direction_NS_24const_host_device_scalarIT2_EEPKiS8_PKS5_iiSA_S6_PS5_21rocsparse_index_base_b, .Lfunc_end87-_ZN9rocsparseL22gebsrmvn_mxn_16_kernelILj44ELj11ELj2E21rocsparse_complex_numIfEEEvi20rocsparse_direction_NS_24const_host_device_scalarIT2_EEPKiS8_PKS5_iiSA_S6_PS5_21rocsparse_index_base_b
                                        ; -- End function
	.set _ZN9rocsparseL22gebsrmvn_mxn_16_kernelILj44ELj11ELj2E21rocsparse_complex_numIfEEEvi20rocsparse_direction_NS_24const_host_device_scalarIT2_EEPKiS8_PKS5_iiSA_S6_PS5_21rocsparse_index_base_b.num_vgpr, 17
	.set _ZN9rocsparseL22gebsrmvn_mxn_16_kernelILj44ELj11ELj2E21rocsparse_complex_numIfEEEvi20rocsparse_direction_NS_24const_host_device_scalarIT2_EEPKiS8_PKS5_iiSA_S6_PS5_21rocsparse_index_base_b.num_agpr, 0
	.set _ZN9rocsparseL22gebsrmvn_mxn_16_kernelILj44ELj11ELj2E21rocsparse_complex_numIfEEEvi20rocsparse_direction_NS_24const_host_device_scalarIT2_EEPKiS8_PKS5_iiSA_S6_PS5_21rocsparse_index_base_b.numbered_sgpr, 18
	.set _ZN9rocsparseL22gebsrmvn_mxn_16_kernelILj44ELj11ELj2E21rocsparse_complex_numIfEEEvi20rocsparse_direction_NS_24const_host_device_scalarIT2_EEPKiS8_PKS5_iiSA_S6_PS5_21rocsparse_index_base_b.num_named_barrier, 0
	.set _ZN9rocsparseL22gebsrmvn_mxn_16_kernelILj44ELj11ELj2E21rocsparse_complex_numIfEEEvi20rocsparse_direction_NS_24const_host_device_scalarIT2_EEPKiS8_PKS5_iiSA_S6_PS5_21rocsparse_index_base_b.private_seg_size, 0
	.set _ZN9rocsparseL22gebsrmvn_mxn_16_kernelILj44ELj11ELj2E21rocsparse_complex_numIfEEEvi20rocsparse_direction_NS_24const_host_device_scalarIT2_EEPKiS8_PKS5_iiSA_S6_PS5_21rocsparse_index_base_b.uses_vcc, 1
	.set _ZN9rocsparseL22gebsrmvn_mxn_16_kernelILj44ELj11ELj2E21rocsparse_complex_numIfEEEvi20rocsparse_direction_NS_24const_host_device_scalarIT2_EEPKiS8_PKS5_iiSA_S6_PS5_21rocsparse_index_base_b.uses_flat_scratch, 0
	.set _ZN9rocsparseL22gebsrmvn_mxn_16_kernelILj44ELj11ELj2E21rocsparse_complex_numIfEEEvi20rocsparse_direction_NS_24const_host_device_scalarIT2_EEPKiS8_PKS5_iiSA_S6_PS5_21rocsparse_index_base_b.has_dyn_sized_stack, 0
	.set _ZN9rocsparseL22gebsrmvn_mxn_16_kernelILj44ELj11ELj2E21rocsparse_complex_numIfEEEvi20rocsparse_direction_NS_24const_host_device_scalarIT2_EEPKiS8_PKS5_iiSA_S6_PS5_21rocsparse_index_base_b.has_recursion, 0
	.set _ZN9rocsparseL22gebsrmvn_mxn_16_kernelILj44ELj11ELj2E21rocsparse_complex_numIfEEEvi20rocsparse_direction_NS_24const_host_device_scalarIT2_EEPKiS8_PKS5_iiSA_S6_PS5_21rocsparse_index_base_b.has_indirect_call, 0
	.section	.AMDGPU.csdata,"",@progbits
; Kernel info:
; codeLenInByte = 952
; TotalNumSgprs: 22
; NumVgprs: 17
; ScratchSize: 0
; MemoryBound: 0
; FloatMode: 240
; IeeeMode: 1
; LDSByteSize: 352 bytes/workgroup (compile time only)
; SGPRBlocks: 2
; VGPRBlocks: 4
; NumSGPRsForWavesPerEU: 22
; NumVGPRsForWavesPerEU: 17
; Occupancy: 10
; WaveLimiterHint : 1
; COMPUTE_PGM_RSRC2:SCRATCH_EN: 0
; COMPUTE_PGM_RSRC2:USER_SGPR: 6
; COMPUTE_PGM_RSRC2:TRAP_HANDLER: 0
; COMPUTE_PGM_RSRC2:TGID_X_EN: 1
; COMPUTE_PGM_RSRC2:TGID_Y_EN: 0
; COMPUTE_PGM_RSRC2:TGID_Z_EN: 0
; COMPUTE_PGM_RSRC2:TIDIG_COMP_CNT: 0
	.section	.text._ZN9rocsparseL22gebsrmvn_mxn_16_kernelILj33ELj11ELj3E21rocsparse_complex_numIfEEEvi20rocsparse_direction_NS_24const_host_device_scalarIT2_EEPKiS8_PKS5_iiSA_S6_PS5_21rocsparse_index_base_b,"axG",@progbits,_ZN9rocsparseL22gebsrmvn_mxn_16_kernelILj33ELj11ELj3E21rocsparse_complex_numIfEEEvi20rocsparse_direction_NS_24const_host_device_scalarIT2_EEPKiS8_PKS5_iiSA_S6_PS5_21rocsparse_index_base_b,comdat
	.globl	_ZN9rocsparseL22gebsrmvn_mxn_16_kernelILj33ELj11ELj3E21rocsparse_complex_numIfEEEvi20rocsparse_direction_NS_24const_host_device_scalarIT2_EEPKiS8_PKS5_iiSA_S6_PS5_21rocsparse_index_base_b ; -- Begin function _ZN9rocsparseL22gebsrmvn_mxn_16_kernelILj33ELj11ELj3E21rocsparse_complex_numIfEEEvi20rocsparse_direction_NS_24const_host_device_scalarIT2_EEPKiS8_PKS5_iiSA_S6_PS5_21rocsparse_index_base_b
	.p2align	8
	.type	_ZN9rocsparseL22gebsrmvn_mxn_16_kernelILj33ELj11ELj3E21rocsparse_complex_numIfEEEvi20rocsparse_direction_NS_24const_host_device_scalarIT2_EEPKiS8_PKS5_iiSA_S6_PS5_21rocsparse_index_base_b,@function
_ZN9rocsparseL22gebsrmvn_mxn_16_kernelILj33ELj11ELj3E21rocsparse_complex_numIfEEEvi20rocsparse_direction_NS_24const_host_device_scalarIT2_EEPKiS8_PKS5_iiSA_S6_PS5_21rocsparse_index_base_b: ; @_ZN9rocsparseL22gebsrmvn_mxn_16_kernelILj33ELj11ELj3E21rocsparse_complex_numIfEEEvi20rocsparse_direction_NS_24const_host_device_scalarIT2_EEPKiS8_PKS5_iiSA_S6_PS5_21rocsparse_index_base_b
; %bb.0:
	s_load_dwordx2 s[0:1], s[4:5], 0x8
	s_load_dwordx2 s[2:3], s[4:5], 0x38
	;; [unrolled: 1-line block ×3, first 2 shown]
	s_add_u32 s7, s4, 8
	s_addc_u32 s8, s5, 0
	s_add_u32 s9, s4, 56
	s_addc_u32 s12, s5, 0
	s_waitcnt lgkmcnt(0)
	s_bitcmp1_b32 s11, 0
	s_cselect_b32 s1, s8, s1
	s_cselect_b32 s0, s7, s0
	v_mov_b32_e32 v1, s0
	v_mov_b32_e32 v2, s1
	flat_load_dwordx2 v[3:4], v[1:2]
	s_cselect_b32 s0, s12, s3
	s_cselect_b32 s1, s9, s2
	v_mov_b32_e32 v1, s1
	v_mov_b32_e32 v2, s0
	flat_load_dwordx2 v[1:2], v[1:2]
	s_waitcnt vmcnt(0) lgkmcnt(0)
	v_cmp_eq_f32_e32 vcc, 0, v3
	v_cmp_eq_f32_e64 s[0:1], 0, v4
	s_and_b64 s[8:9], vcc, s[0:1]
	s_mov_b64 s[0:1], -1
	s_and_saveexec_b64 s[2:3], s[8:9]
; %bb.1:
	v_cmp_neq_f32_e32 vcc, 1.0, v1
	v_cmp_neq_f32_e64 s[0:1], 0, v2
	s_or_b64 s[0:1], vcc, s[0:1]
	s_orn2_b64 s[0:1], s[0:1], exec
; %bb.2:
	s_or_b64 exec, exec, s[2:3]
	s_and_saveexec_b64 s[2:3], s[0:1]
	s_cbranch_execz .LBB88_31
; %bb.3:
	s_load_dwordx2 s[0:1], s[4:5], 0x10
	s_load_dword s2, s[4:5], 0x4
	v_mul_u32_u24_e32 v6, 0x5556, v0
	v_mov_b32_e32 v5, 3
	v_mul_lo_u16_sdwa v6, v6, v5 dst_sel:DWORD dst_unused:UNUSED_PAD src0_sel:WORD_1 src1_sel:DWORD
	v_sub_u16_e32 v12, v0, v6
	s_waitcnt lgkmcnt(0)
	s_cmp_lg_u32 s2, 1
	s_cselect_b64 s[12:13], -1, 0
	s_and_b64 vcc, exec, s[12:13]
	v_mov_b32_e32 v7, v12
	s_cbranch_vccnz .LBB88_5
; %bb.4:
	s_movk_i32 s2, 0x1746
	v_mul_u32_u24_sdwa v6, v0, s2 dst_sel:DWORD dst_unused:UNUSED_PAD src0_sel:WORD_0 src1_sel:DWORD
	s_movk_i32 s2, 0x56
	v_mul_lo_u16_sdwa v7, v6, s2 dst_sel:DWORD dst_unused:UNUSED_PAD src0_sel:WORD_1 src1_sel:DWORD
	v_mul_lo_u16_sdwa v5, v7, v5 dst_sel:DWORD dst_unused:UNUSED_PAD src0_sel:BYTE_1 src1_sel:DWORD
	v_sub_u16_sdwa v5, v6, v5 dst_sel:DWORD dst_unused:UNUSED_PAD src0_sel:WORD_1 src1_sel:DWORD
	v_and_b32_e32 v7, 0xff, v5
.LBB88_5:
	s_ashr_i32 s7, s6, 31
	s_lshl_b64 s[2:3], s[6:7], 2
	s_add_u32 s0, s0, s2
	s_addc_u32 s1, s1, s3
	s_load_dwordx2 s[16:17], s[0:1], 0x0
	s_load_dwordx2 s[8:9], s[4:5], 0x40
	v_mov_b32_e32 v6, 0
	v_mov_b32_e32 v5, 0
	s_waitcnt lgkmcnt(0)
	s_cmp_ge_i32 s16, s17
	s_cbranch_scc1 .LBB88_10
; %bb.6:
	s_load_dwordx4 s[0:3], s[4:5], 0x18
	s_load_dwordx2 s[14:15], s[4:5], 0x30
	v_mad_u64_u32 v[5:6], s[4:5], s16, 33, v[0:1]
	s_movk_i32 s4, 0x7c2
	v_mul_u32_u24_sdwa v13, v0, s4 dst_sel:DWORD dst_unused:UNUSED_PAD src0_sel:WORD_0 src1_sel:DWORD
	s_mul_i32 s4, s10, 33
	v_mov_b32_e32 v9, 0
	s_sub_i32 s7, s17, s10
	s_sub_i32 s11, s16, s10
	v_subrev_u32_e32 v8, s4, v5
	v_mov_b32_e32 v6, v9
	v_mov_b32_e32 v5, v9
	s_branch .LBB88_8
.LBB88_7:                               ;   in Loop: Header=BB88_8 Depth=1
	s_or_b64 exec, exec, s[4:5]
	s_add_i32 s11, s11, 1
	s_cmp_ge_i32 s11, s7
	v_add_u32_e32 v8, 33, v8
	s_cbranch_scc1 .LBB88_10
.LBB88_8:                               ; =>This Inner Loop Header: Depth=1
	v_add_u32_sdwa v10, v13, s11 dst_sel:DWORD dst_unused:UNUSED_PAD src0_sel:WORD_1 src1_sel:DWORD
	v_cmp_gt_i32_e32 vcc, s7, v10
	s_and_saveexec_b64 s[4:5], vcc
	s_cbranch_execz .LBB88_7
; %bb.9:                                ;   in Loop: Header=BB88_8 Depth=1
	v_ashrrev_i32_e32 v11, 31, v10
	v_lshlrev_b64 v[10:11], 2, v[10:11]
	s_waitcnt lgkmcnt(0)
	v_mov_b32_e32 v14, s1
	v_add_co_u32_e32 v10, vcc, s0, v10
	v_addc_co_u32_e32 v11, vcc, v14, v11, vcc
	global_load_dword v14, v[10:11], off
	v_lshlrev_b64 v[10:11], 3, v[8:9]
	v_mov_b32_e32 v16, s3
	v_add_co_u32_e32 v10, vcc, s2, v10
	v_addc_co_u32_e32 v11, vcc, v16, v11, vcc
	v_mov_b32_e32 v17, s15
	global_load_dwordx2 v[10:11], v[10:11], off
	s_waitcnt vmcnt(1)
	v_subrev_u32_e32 v14, s10, v14
	v_mad_u64_u32 v[14:15], s[16:17], v14, 3, v[7:8]
	v_ashrrev_i32_e32 v15, 31, v14
	v_lshlrev_b64 v[14:15], 3, v[14:15]
	v_add_co_u32_e32 v14, vcc, s14, v14
	v_addc_co_u32_e32 v15, vcc, v17, v15, vcc
	global_load_dwordx2 v[14:15], v[14:15], off
	s_waitcnt vmcnt(0)
	v_fmac_f32_e32 v5, v10, v14
	v_fmac_f32_e32 v6, v11, v14
	v_fma_f32 v5, -v11, v15, v5
	v_fmac_f32_e32 v6, v10, v15
	s_branch .LBB88_7
.LBB88_10:
	v_lshlrev_b32_e32 v9, 3, v0
	s_and_b64 vcc, exec, s[12:13]
	ds_write_b64 v9, v[5:6]
	s_waitcnt lgkmcnt(0)
	; wave barrier
	s_cbranch_vccz .LBB88_18
; %bb.11:
	v_cmp_eq_u16_e32 vcc, 0, v12
	s_and_saveexec_b64 s[0:1], vcc
	s_cbranch_execz .LBB88_13
; %bb.12:
	ds_read2_b64 v[10:13], v9 offset1:2
	s_waitcnt lgkmcnt(0)
	v_add_f32_e32 v7, v12, v10
	v_add_f32_e32 v8, v13, v11
	ds_write_b64 v9, v[7:8]
.LBB88_13:
	s_or_b64 exec, exec, s[0:1]
	s_waitcnt lgkmcnt(0)
	; wave barrier
	s_and_saveexec_b64 s[0:1], vcc
	s_cbranch_execz .LBB88_15
; %bb.14:
	ds_read2_b64 v[10:13], v9 offset1:1
	s_waitcnt lgkmcnt(0)
	v_add_f32_e32 v7, v12, v10
	v_add_f32_e32 v8, v13, v11
	ds_write_b64 v9, v[7:8]
.LBB88_15:
	s_or_b64 exec, exec, s[0:1]
	v_cmp_gt_u32_e32 vcc, 11, v0
	v_mov_b32_e32 v8, v6
	v_mov_b32_e32 v7, v5
	s_waitcnt lgkmcnt(0)
	; wave barrier
	s_and_saveexec_b64 s[0:1], vcc
; %bb.16:
	v_lshl_add_u32 v7, v0, 4, v9
	ds_read_b64 v[7:8], v7
; %bb.17:
	s_or_b64 exec, exec, s[0:1]
	v_cmp_gt_u32_e64 s[0:1], 11, v0
	s_branch .LBB88_26
.LBB88_18:
                                        ; implicit-def: $vgpr8
	v_cmp_gt_u32_e64 s[0:1], 11, v0
	s_cbranch_execz .LBB88_26
; %bb.19:
	v_cmp_lt_u32_e32 vcc, 10, v0
	s_and_saveexec_b64 s[2:3], s[0:1]
	s_cbranch_execz .LBB88_21
; %bb.20:
	ds_read2_b64 v[10:13], v9 offset1:22
	s_waitcnt lgkmcnt(0)
	v_add_f32_e32 v7, v12, v10
	v_add_f32_e32 v8, v13, v11
	ds_write_b64 v9, v[7:8]
.LBB88_21:
	s_or_b64 exec, exec, s[2:3]
	s_waitcnt lgkmcnt(0)
	; wave barrier
	s_and_saveexec_b64 s[0:1], vcc
	s_xor_b64 s[0:1], exec, s[0:1]
; %bb.22:
                                        ; implicit-def: $vgpr9
; %bb.23:
	s_andn2_saveexec_b64 s[0:1], s[0:1]
	s_cbranch_execz .LBB88_25
; %bb.24:
	ds_read2_b64 v[5:8], v9 offset1:11
	s_waitcnt lgkmcnt(0)
	v_add_f32_e32 v5, v7, v5
	v_add_f32_e32 v6, v8, v6
	ds_write_b64 v9, v[5:6]
	s_waitcnt lgkmcnt(0)
	ds_read_b64 v[5:6], v9
.LBB88_25:
	s_or_b64 exec, exec, s[0:1]
	s_waitcnt lgkmcnt(0)
	v_mov_b32_e32 v8, v6
	v_mov_b32_e32 v7, v5
.LBB88_26:
	v_cmp_gt_u32_e32 vcc, 11, v0
	s_and_b64 exec, exec, vcc
	s_cbranch_execz .LBB88_31
; %bb.27:
	v_cmp_eq_f32_e32 vcc, 0, v1
	v_cmp_eq_f32_e64 s[0:1], 0, v2
	s_waitcnt lgkmcnt(0)
	v_mul_f32_e64 v5, v8, -v4
	v_mul_f32_e32 v6, v3, v8
	s_and_b64 s[0:1], vcc, s[0:1]
	v_fmac_f32_e32 v5, v3, v7
	v_fmac_f32_e32 v6, v4, v7
	s_and_saveexec_b64 s[2:3], s[0:1]
	s_xor_b64 s[0:1], exec, s[2:3]
	s_cbranch_execz .LBB88_29
; %bb.28:
	v_mad_u64_u32 v[0:1], s[2:3], s6, 11, v[0:1]
	v_mov_b32_e32 v1, 0
	v_mov_b32_e32 v2, s9
	v_lshlrev_b64 v[0:1], 3, v[0:1]
	v_add_co_u32_e32 v0, vcc, s8, v0
	v_addc_co_u32_e32 v1, vcc, v2, v1, vcc
	global_store_dwordx2 v[0:1], v[5:6], off
                                        ; implicit-def: $vgpr0
                                        ; implicit-def: $vgpr1_vgpr2
                                        ; implicit-def: $vgpr5
.LBB88_29:
	s_andn2_saveexec_b64 s[0:1], s[0:1]
	s_cbranch_execz .LBB88_31
; %bb.30:
	v_mad_u64_u32 v[3:4], s[0:1], s6, 11, v[0:1]
	v_mov_b32_e32 v4, 0
	v_mov_b32_e32 v0, s9
	v_lshlrev_b64 v[3:4], 3, v[3:4]
	v_add_co_u32_e32 v3, vcc, s8, v3
	v_addc_co_u32_e32 v4, vcc, v0, v4, vcc
	global_load_dwordx2 v[7:8], v[3:4], off
	s_waitcnt vmcnt(0)
	v_fmac_f32_e32 v5, v1, v7
	v_fmac_f32_e32 v6, v2, v7
	v_fma_f32 v5, -v2, v8, v5
	v_fmac_f32_e32 v6, v1, v8
	global_store_dwordx2 v[3:4], v[5:6], off
.LBB88_31:
	s_endpgm
	.section	.rodata,"a",@progbits
	.p2align	6, 0x0
	.amdhsa_kernel _ZN9rocsparseL22gebsrmvn_mxn_16_kernelILj33ELj11ELj3E21rocsparse_complex_numIfEEEvi20rocsparse_direction_NS_24const_host_device_scalarIT2_EEPKiS8_PKS5_iiSA_S6_PS5_21rocsparse_index_base_b
		.amdhsa_group_segment_fixed_size 264
		.amdhsa_private_segment_fixed_size 0
		.amdhsa_kernarg_size 80
		.amdhsa_user_sgpr_count 6
		.amdhsa_user_sgpr_private_segment_buffer 1
		.amdhsa_user_sgpr_dispatch_ptr 0
		.amdhsa_user_sgpr_queue_ptr 0
		.amdhsa_user_sgpr_kernarg_segment_ptr 1
		.amdhsa_user_sgpr_dispatch_id 0
		.amdhsa_user_sgpr_flat_scratch_init 0
		.amdhsa_user_sgpr_private_segment_size 0
		.amdhsa_uses_dynamic_stack 0
		.amdhsa_system_sgpr_private_segment_wavefront_offset 0
		.amdhsa_system_sgpr_workgroup_id_x 1
		.amdhsa_system_sgpr_workgroup_id_y 0
		.amdhsa_system_sgpr_workgroup_id_z 0
		.amdhsa_system_sgpr_workgroup_info 0
		.amdhsa_system_vgpr_workitem_id 0
		.amdhsa_next_free_vgpr 18
		.amdhsa_next_free_sgpr 18
		.amdhsa_reserve_vcc 1
		.amdhsa_reserve_flat_scratch 0
		.amdhsa_float_round_mode_32 0
		.amdhsa_float_round_mode_16_64 0
		.amdhsa_float_denorm_mode_32 3
		.amdhsa_float_denorm_mode_16_64 3
		.amdhsa_dx10_clamp 1
		.amdhsa_ieee_mode 1
		.amdhsa_fp16_overflow 0
		.amdhsa_exception_fp_ieee_invalid_op 0
		.amdhsa_exception_fp_denorm_src 0
		.amdhsa_exception_fp_ieee_div_zero 0
		.amdhsa_exception_fp_ieee_overflow 0
		.amdhsa_exception_fp_ieee_underflow 0
		.amdhsa_exception_fp_ieee_inexact 0
		.amdhsa_exception_int_div_zero 0
	.end_amdhsa_kernel
	.section	.text._ZN9rocsparseL22gebsrmvn_mxn_16_kernelILj33ELj11ELj3E21rocsparse_complex_numIfEEEvi20rocsparse_direction_NS_24const_host_device_scalarIT2_EEPKiS8_PKS5_iiSA_S6_PS5_21rocsparse_index_base_b,"axG",@progbits,_ZN9rocsparseL22gebsrmvn_mxn_16_kernelILj33ELj11ELj3E21rocsparse_complex_numIfEEEvi20rocsparse_direction_NS_24const_host_device_scalarIT2_EEPKiS8_PKS5_iiSA_S6_PS5_21rocsparse_index_base_b,comdat
.Lfunc_end88:
	.size	_ZN9rocsparseL22gebsrmvn_mxn_16_kernelILj33ELj11ELj3E21rocsparse_complex_numIfEEEvi20rocsparse_direction_NS_24const_host_device_scalarIT2_EEPKiS8_PKS5_iiSA_S6_PS5_21rocsparse_index_base_b, .Lfunc_end88-_ZN9rocsparseL22gebsrmvn_mxn_16_kernelILj33ELj11ELj3E21rocsparse_complex_numIfEEEvi20rocsparse_direction_NS_24const_host_device_scalarIT2_EEPKiS8_PKS5_iiSA_S6_PS5_21rocsparse_index_base_b
                                        ; -- End function
	.set _ZN9rocsparseL22gebsrmvn_mxn_16_kernelILj33ELj11ELj3E21rocsparse_complex_numIfEEEvi20rocsparse_direction_NS_24const_host_device_scalarIT2_EEPKiS8_PKS5_iiSA_S6_PS5_21rocsparse_index_base_b.num_vgpr, 18
	.set _ZN9rocsparseL22gebsrmvn_mxn_16_kernelILj33ELj11ELj3E21rocsparse_complex_numIfEEEvi20rocsparse_direction_NS_24const_host_device_scalarIT2_EEPKiS8_PKS5_iiSA_S6_PS5_21rocsparse_index_base_b.num_agpr, 0
	.set _ZN9rocsparseL22gebsrmvn_mxn_16_kernelILj33ELj11ELj3E21rocsparse_complex_numIfEEEvi20rocsparse_direction_NS_24const_host_device_scalarIT2_EEPKiS8_PKS5_iiSA_S6_PS5_21rocsparse_index_base_b.numbered_sgpr, 18
	.set _ZN9rocsparseL22gebsrmvn_mxn_16_kernelILj33ELj11ELj3E21rocsparse_complex_numIfEEEvi20rocsparse_direction_NS_24const_host_device_scalarIT2_EEPKiS8_PKS5_iiSA_S6_PS5_21rocsparse_index_base_b.num_named_barrier, 0
	.set _ZN9rocsparseL22gebsrmvn_mxn_16_kernelILj33ELj11ELj3E21rocsparse_complex_numIfEEEvi20rocsparse_direction_NS_24const_host_device_scalarIT2_EEPKiS8_PKS5_iiSA_S6_PS5_21rocsparse_index_base_b.private_seg_size, 0
	.set _ZN9rocsparseL22gebsrmvn_mxn_16_kernelILj33ELj11ELj3E21rocsparse_complex_numIfEEEvi20rocsparse_direction_NS_24const_host_device_scalarIT2_EEPKiS8_PKS5_iiSA_S6_PS5_21rocsparse_index_base_b.uses_vcc, 1
	.set _ZN9rocsparseL22gebsrmvn_mxn_16_kernelILj33ELj11ELj3E21rocsparse_complex_numIfEEEvi20rocsparse_direction_NS_24const_host_device_scalarIT2_EEPKiS8_PKS5_iiSA_S6_PS5_21rocsparse_index_base_b.uses_flat_scratch, 0
	.set _ZN9rocsparseL22gebsrmvn_mxn_16_kernelILj33ELj11ELj3E21rocsparse_complex_numIfEEEvi20rocsparse_direction_NS_24const_host_device_scalarIT2_EEPKiS8_PKS5_iiSA_S6_PS5_21rocsparse_index_base_b.has_dyn_sized_stack, 0
	.set _ZN9rocsparseL22gebsrmvn_mxn_16_kernelILj33ELj11ELj3E21rocsparse_complex_numIfEEEvi20rocsparse_direction_NS_24const_host_device_scalarIT2_EEPKiS8_PKS5_iiSA_S6_PS5_21rocsparse_index_base_b.has_recursion, 0
	.set _ZN9rocsparseL22gebsrmvn_mxn_16_kernelILj33ELj11ELj3E21rocsparse_complex_numIfEEEvi20rocsparse_direction_NS_24const_host_device_scalarIT2_EEPKiS8_PKS5_iiSA_S6_PS5_21rocsparse_index_base_b.has_indirect_call, 0
	.section	.AMDGPU.csdata,"",@progbits
; Kernel info:
; codeLenInByte = 1052
; TotalNumSgprs: 22
; NumVgprs: 18
; ScratchSize: 0
; MemoryBound: 0
; FloatMode: 240
; IeeeMode: 1
; LDSByteSize: 264 bytes/workgroup (compile time only)
; SGPRBlocks: 2
; VGPRBlocks: 4
; NumSGPRsForWavesPerEU: 22
; NumVGPRsForWavesPerEU: 18
; Occupancy: 10
; WaveLimiterHint : 1
; COMPUTE_PGM_RSRC2:SCRATCH_EN: 0
; COMPUTE_PGM_RSRC2:USER_SGPR: 6
; COMPUTE_PGM_RSRC2:TRAP_HANDLER: 0
; COMPUTE_PGM_RSRC2:TGID_X_EN: 1
; COMPUTE_PGM_RSRC2:TGID_Y_EN: 0
; COMPUTE_PGM_RSRC2:TGID_Z_EN: 0
; COMPUTE_PGM_RSRC2:TIDIG_COMP_CNT: 0
	.section	.text._ZN9rocsparseL22gebsrmvn_mxn_16_kernelILj44ELj11ELj4E21rocsparse_complex_numIfEEEvi20rocsparse_direction_NS_24const_host_device_scalarIT2_EEPKiS8_PKS5_iiSA_S6_PS5_21rocsparse_index_base_b,"axG",@progbits,_ZN9rocsparseL22gebsrmvn_mxn_16_kernelILj44ELj11ELj4E21rocsparse_complex_numIfEEEvi20rocsparse_direction_NS_24const_host_device_scalarIT2_EEPKiS8_PKS5_iiSA_S6_PS5_21rocsparse_index_base_b,comdat
	.globl	_ZN9rocsparseL22gebsrmvn_mxn_16_kernelILj44ELj11ELj4E21rocsparse_complex_numIfEEEvi20rocsparse_direction_NS_24const_host_device_scalarIT2_EEPKiS8_PKS5_iiSA_S6_PS5_21rocsparse_index_base_b ; -- Begin function _ZN9rocsparseL22gebsrmvn_mxn_16_kernelILj44ELj11ELj4E21rocsparse_complex_numIfEEEvi20rocsparse_direction_NS_24const_host_device_scalarIT2_EEPKiS8_PKS5_iiSA_S6_PS5_21rocsparse_index_base_b
	.p2align	8
	.type	_ZN9rocsparseL22gebsrmvn_mxn_16_kernelILj44ELj11ELj4E21rocsparse_complex_numIfEEEvi20rocsparse_direction_NS_24const_host_device_scalarIT2_EEPKiS8_PKS5_iiSA_S6_PS5_21rocsparse_index_base_b,@function
_ZN9rocsparseL22gebsrmvn_mxn_16_kernelILj44ELj11ELj4E21rocsparse_complex_numIfEEEvi20rocsparse_direction_NS_24const_host_device_scalarIT2_EEPKiS8_PKS5_iiSA_S6_PS5_21rocsparse_index_base_b: ; @_ZN9rocsparseL22gebsrmvn_mxn_16_kernelILj44ELj11ELj4E21rocsparse_complex_numIfEEEvi20rocsparse_direction_NS_24const_host_device_scalarIT2_EEPKiS8_PKS5_iiSA_S6_PS5_21rocsparse_index_base_b
; %bb.0:
	s_load_dwordx2 s[0:1], s[4:5], 0x8
	s_load_dwordx2 s[2:3], s[4:5], 0x38
	;; [unrolled: 1-line block ×3, first 2 shown]
	s_add_u32 s7, s4, 8
	s_addc_u32 s8, s5, 0
	s_add_u32 s9, s4, 56
	s_addc_u32 s12, s5, 0
	s_waitcnt lgkmcnt(0)
	s_bitcmp1_b32 s11, 0
	s_cselect_b32 s1, s8, s1
	s_cselect_b32 s0, s7, s0
	v_mov_b32_e32 v1, s0
	v_mov_b32_e32 v2, s1
	flat_load_dwordx2 v[3:4], v[1:2]
	s_cselect_b32 s0, s12, s3
	s_cselect_b32 s1, s9, s2
	v_mov_b32_e32 v1, s1
	v_mov_b32_e32 v2, s0
	flat_load_dwordx2 v[1:2], v[1:2]
	s_waitcnt vmcnt(0) lgkmcnt(0)
	v_cmp_eq_f32_e32 vcc, 0, v3
	v_cmp_eq_f32_e64 s[0:1], 0, v4
	s_and_b64 s[8:9], vcc, s[0:1]
	s_mov_b64 s[0:1], -1
	s_and_saveexec_b64 s[2:3], s[8:9]
; %bb.1:
	v_cmp_neq_f32_e32 vcc, 1.0, v1
	v_cmp_neq_f32_e64 s[0:1], 0, v2
	s_or_b64 s[0:1], vcc, s[0:1]
	s_orn2_b64 s[0:1], s[0:1], exec
; %bb.2:
	s_or_b64 exec, exec, s[2:3]
	s_and_saveexec_b64 s[2:3], s[0:1]
	s_cbranch_execz .LBB89_31
; %bb.3:
	s_load_dword s2, s[4:5], 0x4
	s_load_dwordx2 s[0:1], s[4:5], 0x10
	v_and_b32_e32 v11, 3, v0
	v_mov_b32_e32 v12, v11
	s_waitcnt lgkmcnt(0)
	s_cmp_lg_u32 s2, 1
	s_cselect_b64 s[12:13], -1, 0
	s_and_b64 vcc, exec, s[12:13]
	s_cbranch_vccnz .LBB89_5
; %bb.4:
	v_mul_u32_u24_e32 v5, 0x1746, v0
	v_bfe_u32 v12, v5, 16, 2
.LBB89_5:
	s_ashr_i32 s7, s6, 31
	s_lshl_b64 s[2:3], s[6:7], 2
	s_add_u32 s0, s0, s2
	s_addc_u32 s1, s1, s3
	s_load_dwordx2 s[16:17], s[0:1], 0x0
	s_load_dwordx2 s[8:9], s[4:5], 0x40
	v_mov_b32_e32 v6, 0
	v_mov_b32_e32 v5, 0
	s_waitcnt lgkmcnt(0)
	s_cmp_ge_i32 s16, s17
	s_cbranch_scc1 .LBB89_10
; %bb.6:
	s_load_dwordx4 s[0:3], s[4:5], 0x18
	s_load_dwordx2 s[14:15], s[4:5], 0x30
	v_mad_u64_u32 v[5:6], s[4:5], s16, 44, v[0:1]
	s_mul_i32 s4, s10, 44
	v_mov_b32_e32 v8, 0
	s_sub_i32 s7, s17, s10
	s_sub_i32 s11, s16, s10
	v_mul_u32_u24_e32 v13, 0x5d2, v0
	v_subrev_u32_e32 v7, s4, v5
	v_mov_b32_e32 v6, v8
	v_mov_b32_e32 v5, v8
	s_branch .LBB89_8
.LBB89_7:                               ;   in Loop: Header=BB89_8 Depth=1
	s_or_b64 exec, exec, s[4:5]
	s_add_i32 s11, s11, 1
	s_cmp_ge_i32 s11, s7
	v_add_u32_e32 v7, 44, v7
	s_cbranch_scc1 .LBB89_10
.LBB89_8:                               ; =>This Inner Loop Header: Depth=1
	v_add_u32_sdwa v9, v13, s11 dst_sel:DWORD dst_unused:UNUSED_PAD src0_sel:WORD_1 src1_sel:DWORD
	v_cmp_gt_i32_e32 vcc, s7, v9
	s_and_saveexec_b64 s[4:5], vcc
	s_cbranch_execz .LBB89_7
; %bb.9:                                ;   in Loop: Header=BB89_8 Depth=1
	v_ashrrev_i32_e32 v10, 31, v9
	v_lshlrev_b64 v[9:10], 2, v[9:10]
	s_waitcnt lgkmcnt(0)
	v_mov_b32_e32 v14, s1
	v_add_co_u32_e32 v9, vcc, s0, v9
	v_addc_co_u32_e32 v10, vcc, v14, v10, vcc
	global_load_dword v14, v[9:10], off
	v_lshlrev_b64 v[9:10], 3, v[7:8]
	v_mov_b32_e32 v15, s3
	v_add_co_u32_e32 v9, vcc, s2, v9
	v_addc_co_u32_e32 v10, vcc, v15, v10, vcc
	v_mov_b32_e32 v16, s15
	global_load_dwordx2 v[9:10], v[9:10], off
	s_waitcnt vmcnt(1)
	v_subrev_u32_e32 v14, s10, v14
	v_lshl_or_b32 v14, v14, 2, v12
	v_ashrrev_i32_e32 v15, 31, v14
	v_lshlrev_b64 v[14:15], 3, v[14:15]
	v_add_co_u32_e32 v14, vcc, s14, v14
	v_addc_co_u32_e32 v15, vcc, v16, v15, vcc
	global_load_dwordx2 v[14:15], v[14:15], off
	s_waitcnt vmcnt(0)
	v_fmac_f32_e32 v5, v9, v14
	v_fmac_f32_e32 v6, v10, v14
	v_fma_f32 v5, -v10, v15, v5
	v_fmac_f32_e32 v6, v9, v15
	s_branch .LBB89_7
.LBB89_10:
	v_lshlrev_b32_e32 v9, 3, v0
	s_and_b64 vcc, exec, s[12:13]
	ds_write_b64 v9, v[5:6]
	s_waitcnt lgkmcnt(0)
	; wave barrier
	s_cbranch_vccz .LBB89_18
; %bb.11:
	v_cmp_gt_u32_e32 vcc, 2, v11
	s_and_saveexec_b64 s[0:1], vcc
	s_cbranch_execz .LBB89_13
; %bb.12:
	ds_read2_b64 v[12:15], v9 offset1:2
	s_waitcnt lgkmcnt(0)
	v_add_f32_e32 v7, v14, v12
	v_add_f32_e32 v8, v15, v13
	ds_write_b64 v9, v[7:8]
.LBB89_13:
	s_or_b64 exec, exec, s[0:1]
	v_cmp_eq_u32_e32 vcc, 0, v11
	s_waitcnt lgkmcnt(0)
	; wave barrier
	s_and_saveexec_b64 s[0:1], vcc
	s_cbranch_execz .LBB89_15
; %bb.14:
	ds_read2_b64 v[10:13], v9 offset1:1
	s_waitcnt lgkmcnt(0)
	v_add_f32_e32 v7, v12, v10
	v_add_f32_e32 v8, v13, v11
	ds_write_b64 v9, v[7:8]
.LBB89_15:
	s_or_b64 exec, exec, s[0:1]
	v_cmp_gt_u32_e32 vcc, 11, v0
	v_mov_b32_e32 v8, v6
	v_mov_b32_e32 v7, v5
	s_waitcnt lgkmcnt(0)
	; wave barrier
	s_and_saveexec_b64 s[0:1], vcc
; %bb.16:
	v_mad_u32_u24 v7, v0, 24, v9
	ds_read_b64 v[7:8], v7
; %bb.17:
	s_or_b64 exec, exec, s[0:1]
	s_branch .LBB89_26
.LBB89_18:
                                        ; implicit-def: $vgpr8
	s_cbranch_execz .LBB89_26
; %bb.19:
	v_cmp_gt_u32_e32 vcc, 22, v0
	s_and_saveexec_b64 s[0:1], vcc
	s_cbranch_execz .LBB89_21
; %bb.20:
	ds_read2_b64 v[10:13], v9 offset1:22
	s_waitcnt lgkmcnt(0)
	v_add_f32_e32 v7, v12, v10
	v_add_f32_e32 v8, v13, v11
	ds_write_b64 v9, v[7:8]
.LBB89_21:
	s_or_b64 exec, exec, s[0:1]
	v_cmp_lt_u32_e32 vcc, 10, v0
	s_waitcnt lgkmcnt(0)
	s_and_saveexec_b64 s[0:1], vcc
	s_xor_b64 s[0:1], exec, s[0:1]
; %bb.22:
                                        ; implicit-def: $vgpr9
; %bb.23:
	s_andn2_saveexec_b64 s[0:1], s[0:1]
	s_cbranch_execz .LBB89_25
; %bb.24:
	ds_read2_b64 v[5:8], v9 offset1:11
	s_waitcnt lgkmcnt(0)
	v_add_f32_e32 v5, v7, v5
	v_add_f32_e32 v6, v8, v6
	ds_write_b64 v9, v[5:6]
	s_waitcnt lgkmcnt(0)
	ds_read_b64 v[5:6], v9
.LBB89_25:
	s_or_b64 exec, exec, s[0:1]
	s_waitcnt lgkmcnt(0)
	v_mov_b32_e32 v8, v6
	v_mov_b32_e32 v7, v5
.LBB89_26:
	v_cmp_gt_u32_e32 vcc, 11, v0
	s_and_b64 exec, exec, vcc
	s_cbranch_execz .LBB89_31
; %bb.27:
	v_cmp_eq_f32_e32 vcc, 0, v1
	v_cmp_eq_f32_e64 s[0:1], 0, v2
	s_waitcnt lgkmcnt(0)
	v_mul_f32_e64 v5, v8, -v4
	v_mul_f32_e32 v6, v3, v8
	s_and_b64 s[0:1], vcc, s[0:1]
	v_fmac_f32_e32 v5, v3, v7
	v_fmac_f32_e32 v6, v4, v7
	s_and_saveexec_b64 s[2:3], s[0:1]
	s_xor_b64 s[0:1], exec, s[2:3]
	s_cbranch_execz .LBB89_29
; %bb.28:
	v_mad_u64_u32 v[0:1], s[2:3], s6, 11, v[0:1]
	v_mov_b32_e32 v1, 0
	v_mov_b32_e32 v2, s9
	v_lshlrev_b64 v[0:1], 3, v[0:1]
	v_add_co_u32_e32 v0, vcc, s8, v0
	v_addc_co_u32_e32 v1, vcc, v2, v1, vcc
	global_store_dwordx2 v[0:1], v[5:6], off
                                        ; implicit-def: $vgpr0
                                        ; implicit-def: $vgpr1_vgpr2
                                        ; implicit-def: $vgpr5
.LBB89_29:
	s_andn2_saveexec_b64 s[0:1], s[0:1]
	s_cbranch_execz .LBB89_31
; %bb.30:
	v_mad_u64_u32 v[3:4], s[0:1], s6, 11, v[0:1]
	v_mov_b32_e32 v4, 0
	v_mov_b32_e32 v0, s9
	v_lshlrev_b64 v[3:4], 3, v[3:4]
	v_add_co_u32_e32 v3, vcc, s8, v3
	v_addc_co_u32_e32 v4, vcc, v0, v4, vcc
	global_load_dwordx2 v[7:8], v[3:4], off
	s_waitcnt vmcnt(0)
	v_fmac_f32_e32 v5, v1, v7
	v_fmac_f32_e32 v6, v2, v7
	v_fma_f32 v5, -v2, v8, v5
	v_fmac_f32_e32 v6, v1, v8
	global_store_dwordx2 v[3:4], v[5:6], off
.LBB89_31:
	s_endpgm
	.section	.rodata,"a",@progbits
	.p2align	6, 0x0
	.amdhsa_kernel _ZN9rocsparseL22gebsrmvn_mxn_16_kernelILj44ELj11ELj4E21rocsparse_complex_numIfEEEvi20rocsparse_direction_NS_24const_host_device_scalarIT2_EEPKiS8_PKS5_iiSA_S6_PS5_21rocsparse_index_base_b
		.amdhsa_group_segment_fixed_size 352
		.amdhsa_private_segment_fixed_size 0
		.amdhsa_kernarg_size 80
		.amdhsa_user_sgpr_count 6
		.amdhsa_user_sgpr_private_segment_buffer 1
		.amdhsa_user_sgpr_dispatch_ptr 0
		.amdhsa_user_sgpr_queue_ptr 0
		.amdhsa_user_sgpr_kernarg_segment_ptr 1
		.amdhsa_user_sgpr_dispatch_id 0
		.amdhsa_user_sgpr_flat_scratch_init 0
		.amdhsa_user_sgpr_private_segment_size 0
		.amdhsa_uses_dynamic_stack 0
		.amdhsa_system_sgpr_private_segment_wavefront_offset 0
		.amdhsa_system_sgpr_workgroup_id_x 1
		.amdhsa_system_sgpr_workgroup_id_y 0
		.amdhsa_system_sgpr_workgroup_id_z 0
		.amdhsa_system_sgpr_workgroup_info 0
		.amdhsa_system_vgpr_workitem_id 0
		.amdhsa_next_free_vgpr 17
		.amdhsa_next_free_sgpr 18
		.amdhsa_reserve_vcc 1
		.amdhsa_reserve_flat_scratch 0
		.amdhsa_float_round_mode_32 0
		.amdhsa_float_round_mode_16_64 0
		.amdhsa_float_denorm_mode_32 3
		.amdhsa_float_denorm_mode_16_64 3
		.amdhsa_dx10_clamp 1
		.amdhsa_ieee_mode 1
		.amdhsa_fp16_overflow 0
		.amdhsa_exception_fp_ieee_invalid_op 0
		.amdhsa_exception_fp_denorm_src 0
		.amdhsa_exception_fp_ieee_div_zero 0
		.amdhsa_exception_fp_ieee_overflow 0
		.amdhsa_exception_fp_ieee_underflow 0
		.amdhsa_exception_fp_ieee_inexact 0
		.amdhsa_exception_int_div_zero 0
	.end_amdhsa_kernel
	.section	.text._ZN9rocsparseL22gebsrmvn_mxn_16_kernelILj44ELj11ELj4E21rocsparse_complex_numIfEEEvi20rocsparse_direction_NS_24const_host_device_scalarIT2_EEPKiS8_PKS5_iiSA_S6_PS5_21rocsparse_index_base_b,"axG",@progbits,_ZN9rocsparseL22gebsrmvn_mxn_16_kernelILj44ELj11ELj4E21rocsparse_complex_numIfEEEvi20rocsparse_direction_NS_24const_host_device_scalarIT2_EEPKiS8_PKS5_iiSA_S6_PS5_21rocsparse_index_base_b,comdat
.Lfunc_end89:
	.size	_ZN9rocsparseL22gebsrmvn_mxn_16_kernelILj44ELj11ELj4E21rocsparse_complex_numIfEEEvi20rocsparse_direction_NS_24const_host_device_scalarIT2_EEPKiS8_PKS5_iiSA_S6_PS5_21rocsparse_index_base_b, .Lfunc_end89-_ZN9rocsparseL22gebsrmvn_mxn_16_kernelILj44ELj11ELj4E21rocsparse_complex_numIfEEEvi20rocsparse_direction_NS_24const_host_device_scalarIT2_EEPKiS8_PKS5_iiSA_S6_PS5_21rocsparse_index_base_b
                                        ; -- End function
	.set _ZN9rocsparseL22gebsrmvn_mxn_16_kernelILj44ELj11ELj4E21rocsparse_complex_numIfEEEvi20rocsparse_direction_NS_24const_host_device_scalarIT2_EEPKiS8_PKS5_iiSA_S6_PS5_21rocsparse_index_base_b.num_vgpr, 17
	.set _ZN9rocsparseL22gebsrmvn_mxn_16_kernelILj44ELj11ELj4E21rocsparse_complex_numIfEEEvi20rocsparse_direction_NS_24const_host_device_scalarIT2_EEPKiS8_PKS5_iiSA_S6_PS5_21rocsparse_index_base_b.num_agpr, 0
	.set _ZN9rocsparseL22gebsrmvn_mxn_16_kernelILj44ELj11ELj4E21rocsparse_complex_numIfEEEvi20rocsparse_direction_NS_24const_host_device_scalarIT2_EEPKiS8_PKS5_iiSA_S6_PS5_21rocsparse_index_base_b.numbered_sgpr, 18
	.set _ZN9rocsparseL22gebsrmvn_mxn_16_kernelILj44ELj11ELj4E21rocsparse_complex_numIfEEEvi20rocsparse_direction_NS_24const_host_device_scalarIT2_EEPKiS8_PKS5_iiSA_S6_PS5_21rocsparse_index_base_b.num_named_barrier, 0
	.set _ZN9rocsparseL22gebsrmvn_mxn_16_kernelILj44ELj11ELj4E21rocsparse_complex_numIfEEEvi20rocsparse_direction_NS_24const_host_device_scalarIT2_EEPKiS8_PKS5_iiSA_S6_PS5_21rocsparse_index_base_b.private_seg_size, 0
	.set _ZN9rocsparseL22gebsrmvn_mxn_16_kernelILj44ELj11ELj4E21rocsparse_complex_numIfEEEvi20rocsparse_direction_NS_24const_host_device_scalarIT2_EEPKiS8_PKS5_iiSA_S6_PS5_21rocsparse_index_base_b.uses_vcc, 1
	.set _ZN9rocsparseL22gebsrmvn_mxn_16_kernelILj44ELj11ELj4E21rocsparse_complex_numIfEEEvi20rocsparse_direction_NS_24const_host_device_scalarIT2_EEPKiS8_PKS5_iiSA_S6_PS5_21rocsparse_index_base_b.uses_flat_scratch, 0
	.set _ZN9rocsparseL22gebsrmvn_mxn_16_kernelILj44ELj11ELj4E21rocsparse_complex_numIfEEEvi20rocsparse_direction_NS_24const_host_device_scalarIT2_EEPKiS8_PKS5_iiSA_S6_PS5_21rocsparse_index_base_b.has_dyn_sized_stack, 0
	.set _ZN9rocsparseL22gebsrmvn_mxn_16_kernelILj44ELj11ELj4E21rocsparse_complex_numIfEEEvi20rocsparse_direction_NS_24const_host_device_scalarIT2_EEPKiS8_PKS5_iiSA_S6_PS5_21rocsparse_index_base_b.has_recursion, 0
	.set _ZN9rocsparseL22gebsrmvn_mxn_16_kernelILj44ELj11ELj4E21rocsparse_complex_numIfEEEvi20rocsparse_direction_NS_24const_host_device_scalarIT2_EEPKiS8_PKS5_iiSA_S6_PS5_21rocsparse_index_base_b.has_indirect_call, 0
	.section	.AMDGPU.csdata,"",@progbits
; Kernel info:
; codeLenInByte = 988
; TotalNumSgprs: 22
; NumVgprs: 17
; ScratchSize: 0
; MemoryBound: 0
; FloatMode: 240
; IeeeMode: 1
; LDSByteSize: 352 bytes/workgroup (compile time only)
; SGPRBlocks: 2
; VGPRBlocks: 4
; NumSGPRsForWavesPerEU: 22
; NumVGPRsForWavesPerEU: 17
; Occupancy: 10
; WaveLimiterHint : 1
; COMPUTE_PGM_RSRC2:SCRATCH_EN: 0
; COMPUTE_PGM_RSRC2:USER_SGPR: 6
; COMPUTE_PGM_RSRC2:TRAP_HANDLER: 0
; COMPUTE_PGM_RSRC2:TGID_X_EN: 1
; COMPUTE_PGM_RSRC2:TGID_Y_EN: 0
; COMPUTE_PGM_RSRC2:TGID_Z_EN: 0
; COMPUTE_PGM_RSRC2:TIDIG_COMP_CNT: 0
	.section	.text._ZN9rocsparseL22gebsrmvn_mxn_16_kernelILj55ELj11ELj5E21rocsparse_complex_numIfEEEvi20rocsparse_direction_NS_24const_host_device_scalarIT2_EEPKiS8_PKS5_iiSA_S6_PS5_21rocsparse_index_base_b,"axG",@progbits,_ZN9rocsparseL22gebsrmvn_mxn_16_kernelILj55ELj11ELj5E21rocsparse_complex_numIfEEEvi20rocsparse_direction_NS_24const_host_device_scalarIT2_EEPKiS8_PKS5_iiSA_S6_PS5_21rocsparse_index_base_b,comdat
	.globl	_ZN9rocsparseL22gebsrmvn_mxn_16_kernelILj55ELj11ELj5E21rocsparse_complex_numIfEEEvi20rocsparse_direction_NS_24const_host_device_scalarIT2_EEPKiS8_PKS5_iiSA_S6_PS5_21rocsparse_index_base_b ; -- Begin function _ZN9rocsparseL22gebsrmvn_mxn_16_kernelILj55ELj11ELj5E21rocsparse_complex_numIfEEEvi20rocsparse_direction_NS_24const_host_device_scalarIT2_EEPKiS8_PKS5_iiSA_S6_PS5_21rocsparse_index_base_b
	.p2align	8
	.type	_ZN9rocsparseL22gebsrmvn_mxn_16_kernelILj55ELj11ELj5E21rocsparse_complex_numIfEEEvi20rocsparse_direction_NS_24const_host_device_scalarIT2_EEPKiS8_PKS5_iiSA_S6_PS5_21rocsparse_index_base_b,@function
_ZN9rocsparseL22gebsrmvn_mxn_16_kernelILj55ELj11ELj5E21rocsparse_complex_numIfEEEvi20rocsparse_direction_NS_24const_host_device_scalarIT2_EEPKiS8_PKS5_iiSA_S6_PS5_21rocsparse_index_base_b: ; @_ZN9rocsparseL22gebsrmvn_mxn_16_kernelILj55ELj11ELj5E21rocsparse_complex_numIfEEEvi20rocsparse_direction_NS_24const_host_device_scalarIT2_EEPKiS8_PKS5_iiSA_S6_PS5_21rocsparse_index_base_b
; %bb.0:
	s_load_dwordx2 s[0:1], s[4:5], 0x8
	s_load_dwordx2 s[2:3], s[4:5], 0x38
	;; [unrolled: 1-line block ×3, first 2 shown]
	s_add_u32 s7, s4, 8
	s_addc_u32 s8, s5, 0
	s_add_u32 s9, s4, 56
	s_addc_u32 s12, s5, 0
	s_waitcnt lgkmcnt(0)
	s_bitcmp1_b32 s11, 0
	s_cselect_b32 s1, s8, s1
	s_cselect_b32 s0, s7, s0
	v_mov_b32_e32 v1, s0
	v_mov_b32_e32 v2, s1
	flat_load_dwordx2 v[3:4], v[1:2]
	s_cselect_b32 s0, s12, s3
	s_cselect_b32 s1, s9, s2
	v_mov_b32_e32 v1, s1
	v_mov_b32_e32 v2, s0
	flat_load_dwordx2 v[1:2], v[1:2]
	s_waitcnt vmcnt(0) lgkmcnt(0)
	v_cmp_eq_f32_e32 vcc, 0, v3
	v_cmp_eq_f32_e64 s[0:1], 0, v4
	s_and_b64 s[8:9], vcc, s[0:1]
	s_mov_b64 s[0:1], -1
	s_and_saveexec_b64 s[2:3], s[8:9]
; %bb.1:
	v_cmp_neq_f32_e32 vcc, 1.0, v1
	v_cmp_neq_f32_e64 s[0:1], 0, v2
	s_or_b64 s[0:1], vcc, s[0:1]
	s_orn2_b64 s[0:1], s[0:1], exec
; %bb.2:
	s_or_b64 exec, exec, s[2:3]
	s_and_saveexec_b64 s[2:3], s[0:1]
	s_cbranch_execz .LBB90_35
; %bb.3:
	s_load_dwordx2 s[0:1], s[4:5], 0x10
	s_load_dword s2, s[4:5], 0x4
	v_mul_u32_u24_e32 v6, 0x3334, v0
	v_mov_b32_e32 v5, 5
	v_mul_lo_u16_sdwa v6, v6, v5 dst_sel:DWORD dst_unused:UNUSED_PAD src0_sel:WORD_1 src1_sel:DWORD
	v_sub_u16_e32 v12, v0, v6
	s_waitcnt lgkmcnt(0)
	s_cmp_lg_u32 s2, 1
	s_cselect_b64 s[12:13], -1, 0
	s_and_b64 vcc, exec, s[12:13]
	v_mov_b32_e32 v7, v12
	s_cbranch_vccnz .LBB90_5
; %bb.4:
	s_movk_i32 s2, 0x1746
	v_mul_u32_u24_sdwa v6, v0, s2 dst_sel:DWORD dst_unused:UNUSED_PAD src0_sel:WORD_0 src1_sel:DWORD
	v_mov_b32_e32 v7, 52
	v_mul_lo_u16_sdwa v7, v6, v7 dst_sel:DWORD dst_unused:UNUSED_PAD src0_sel:WORD_1 src1_sel:DWORD
	v_mul_lo_u16_sdwa v5, v7, v5 dst_sel:DWORD dst_unused:UNUSED_PAD src0_sel:BYTE_1 src1_sel:DWORD
	v_sub_u16_sdwa v5, v6, v5 dst_sel:DWORD dst_unused:UNUSED_PAD src0_sel:WORD_1 src1_sel:DWORD
	v_and_b32_e32 v7, 0xff, v5
.LBB90_5:
	s_ashr_i32 s7, s6, 31
	s_lshl_b64 s[2:3], s[6:7], 2
	s_add_u32 s0, s0, s2
	s_addc_u32 s1, s1, s3
	s_load_dwordx2 s[16:17], s[0:1], 0x0
	s_load_dwordx2 s[8:9], s[4:5], 0x40
	v_mov_b32_e32 v6, 0
	v_mov_b32_e32 v5, 0
	s_waitcnt lgkmcnt(0)
	s_cmp_ge_i32 s16, s17
	s_cbranch_scc1 .LBB90_10
; %bb.6:
	s_load_dwordx4 s[0:3], s[4:5], 0x18
	s_load_dwordx2 s[14:15], s[4:5], 0x30
	v_mad_u64_u32 v[5:6], s[4:5], s16, 55, v[0:1]
	s_movk_i32 s4, 0x4a8
	v_mul_u32_u24_sdwa v13, v0, s4 dst_sel:DWORD dst_unused:UNUSED_PAD src0_sel:WORD_0 src1_sel:DWORD
	s_mul_i32 s4, s10, 55
	v_mov_b32_e32 v9, 0
	s_sub_i32 s7, s17, s10
	s_sub_i32 s11, s16, s10
	v_subrev_u32_e32 v8, s4, v5
	v_mov_b32_e32 v6, v9
	v_mov_b32_e32 v5, v9
	s_branch .LBB90_8
.LBB90_7:                               ;   in Loop: Header=BB90_8 Depth=1
	s_or_b64 exec, exec, s[4:5]
	s_add_i32 s11, s11, 1
	s_cmp_ge_i32 s11, s7
	v_add_u32_e32 v8, 55, v8
	s_cbranch_scc1 .LBB90_10
.LBB90_8:                               ; =>This Inner Loop Header: Depth=1
	v_add_u32_sdwa v10, v13, s11 dst_sel:DWORD dst_unused:UNUSED_PAD src0_sel:WORD_1 src1_sel:DWORD
	v_cmp_gt_i32_e32 vcc, s7, v10
	s_and_saveexec_b64 s[4:5], vcc
	s_cbranch_execz .LBB90_7
; %bb.9:                                ;   in Loop: Header=BB90_8 Depth=1
	v_ashrrev_i32_e32 v11, 31, v10
	v_lshlrev_b64 v[10:11], 2, v[10:11]
	s_waitcnt lgkmcnt(0)
	v_mov_b32_e32 v14, s1
	v_add_co_u32_e32 v10, vcc, s0, v10
	v_addc_co_u32_e32 v11, vcc, v14, v11, vcc
	global_load_dword v14, v[10:11], off
	v_lshlrev_b64 v[10:11], 3, v[8:9]
	v_mov_b32_e32 v16, s3
	v_add_co_u32_e32 v10, vcc, s2, v10
	v_addc_co_u32_e32 v11, vcc, v16, v11, vcc
	v_mov_b32_e32 v17, s15
	global_load_dwordx2 v[10:11], v[10:11], off
	s_waitcnt vmcnt(1)
	v_subrev_u32_e32 v14, s10, v14
	v_mad_u64_u32 v[14:15], s[16:17], v14, 5, v[7:8]
	v_ashrrev_i32_e32 v15, 31, v14
	v_lshlrev_b64 v[14:15], 3, v[14:15]
	v_add_co_u32_e32 v14, vcc, s14, v14
	v_addc_co_u32_e32 v15, vcc, v17, v15, vcc
	global_load_dwordx2 v[14:15], v[14:15], off
	s_waitcnt vmcnt(0)
	v_fmac_f32_e32 v5, v10, v14
	v_fmac_f32_e32 v6, v11, v14
	v_fma_f32 v5, -v11, v15, v5
	v_fmac_f32_e32 v6, v10, v15
	s_branch .LBB90_7
.LBB90_10:
	v_lshlrev_b32_e32 v9, 3, v0
	s_and_b64 vcc, exec, s[12:13]
	ds_write_b64 v9, v[5:6]
	s_waitcnt lgkmcnt(0)
	; wave barrier
	s_cbranch_vccz .LBB90_20
; %bb.11:
	v_cmp_eq_u16_e32 vcc, 0, v12
	s_and_saveexec_b64 s[0:1], vcc
	s_cbranch_execz .LBB90_13
; %bb.12:
	ds_read2_b64 v[13:16], v9 offset1:4
	s_waitcnt lgkmcnt(0)
	v_add_f32_e32 v7, v15, v13
	v_add_f32_e32 v8, v16, v14
	ds_write_b64 v9, v[7:8]
.LBB90_13:
	s_or_b64 exec, exec, s[0:1]
	v_cmp_gt_u16_e64 s[0:1], 2, v12
	s_waitcnt lgkmcnt(0)
	; wave barrier
	s_and_saveexec_b64 s[2:3], s[0:1]
	s_cbranch_execz .LBB90_15
; %bb.14:
	ds_read2_b64 v[10:13], v9 offset1:2
	s_waitcnt lgkmcnt(0)
	v_add_f32_e32 v7, v12, v10
	v_add_f32_e32 v8, v13, v11
	ds_write_b64 v9, v[7:8]
.LBB90_15:
	s_or_b64 exec, exec, s[2:3]
	s_waitcnt lgkmcnt(0)
	; wave barrier
	s_and_saveexec_b64 s[0:1], vcc
	s_cbranch_execz .LBB90_17
; %bb.16:
	ds_read2_b64 v[10:13], v9 offset1:1
	s_waitcnt lgkmcnt(0)
	v_add_f32_e32 v7, v12, v10
	v_add_f32_e32 v8, v13, v11
	ds_write_b64 v9, v[7:8]
.LBB90_17:
	s_or_b64 exec, exec, s[0:1]
	v_cmp_gt_u32_e32 vcc, 11, v0
	v_mov_b32_e32 v8, v6
	v_mov_b32_e32 v7, v5
	s_waitcnt lgkmcnt(0)
	; wave barrier
	s_and_saveexec_b64 s[0:1], vcc
; %bb.18:
	v_lshl_add_u32 v7, v0, 5, v9
	ds_read_b64 v[7:8], v7
; %bb.19:
	s_or_b64 exec, exec, s[0:1]
	v_cmp_gt_u32_e64 s[0:1], 11, v0
	s_branch .LBB90_30
.LBB90_20:
                                        ; implicit-def: $vgpr8
	v_cmp_gt_u32_e64 s[0:1], 11, v0
	s_cbranch_execz .LBB90_30
; %bb.21:
	v_cmp_lt_u32_e32 vcc, 10, v0
	s_and_saveexec_b64 s[2:3], s[0:1]
	s_cbranch_execz .LBB90_23
; %bb.22:
	ds_read2_b64 v[10:13], v9 offset1:44
	s_waitcnt lgkmcnt(0)
	v_add_f32_e32 v7, v12, v10
	v_add_f32_e32 v8, v13, v11
	ds_write_b64 v9, v[7:8]
.LBB90_23:
	s_or_b64 exec, exec, s[2:3]
	v_cmp_gt_u32_e64 s[0:1], 22, v0
	s_waitcnt lgkmcnt(0)
	; wave barrier
	s_and_saveexec_b64 s[2:3], s[0:1]
	s_cbranch_execz .LBB90_25
; %bb.24:
	ds_read2_b64 v[10:13], v9 offset1:22
	s_waitcnt lgkmcnt(0)
	v_add_f32_e32 v7, v12, v10
	v_add_f32_e32 v8, v13, v11
	ds_write_b64 v9, v[7:8]
.LBB90_25:
	s_or_b64 exec, exec, s[2:3]
	s_waitcnt lgkmcnt(0)
	s_and_saveexec_b64 s[0:1], vcc
	s_xor_b64 s[0:1], exec, s[0:1]
; %bb.26:
                                        ; implicit-def: $vgpr9
; %bb.27:
	s_andn2_saveexec_b64 s[0:1], s[0:1]
	s_cbranch_execz .LBB90_29
; %bb.28:
	ds_read2_b64 v[5:8], v9 offset1:11
	s_waitcnt lgkmcnt(0)
	v_add_f32_e32 v5, v7, v5
	v_add_f32_e32 v6, v8, v6
	ds_write_b64 v9, v[5:6]
	s_waitcnt lgkmcnt(0)
	ds_read_b64 v[5:6], v9
.LBB90_29:
	s_or_b64 exec, exec, s[0:1]
	s_waitcnt lgkmcnt(0)
	v_mov_b32_e32 v8, v6
	v_mov_b32_e32 v7, v5
.LBB90_30:
	v_cmp_gt_u32_e32 vcc, 11, v0
	s_and_b64 exec, exec, vcc
	s_cbranch_execz .LBB90_35
; %bb.31:
	v_cmp_eq_f32_e32 vcc, 0, v1
	v_cmp_eq_f32_e64 s[0:1], 0, v2
	s_waitcnt lgkmcnt(0)
	v_mul_f32_e64 v5, v8, -v4
	v_mul_f32_e32 v6, v3, v8
	s_and_b64 s[0:1], vcc, s[0:1]
	v_fmac_f32_e32 v5, v3, v7
	v_fmac_f32_e32 v6, v4, v7
	s_and_saveexec_b64 s[2:3], s[0:1]
	s_xor_b64 s[0:1], exec, s[2:3]
	s_cbranch_execz .LBB90_33
; %bb.32:
	v_mad_u64_u32 v[0:1], s[2:3], s6, 11, v[0:1]
	v_mov_b32_e32 v1, 0
	v_mov_b32_e32 v2, s9
	v_lshlrev_b64 v[0:1], 3, v[0:1]
	v_add_co_u32_e32 v0, vcc, s8, v0
	v_addc_co_u32_e32 v1, vcc, v2, v1, vcc
	global_store_dwordx2 v[0:1], v[5:6], off
                                        ; implicit-def: $vgpr0
                                        ; implicit-def: $vgpr1_vgpr2
                                        ; implicit-def: $vgpr5
.LBB90_33:
	s_andn2_saveexec_b64 s[0:1], s[0:1]
	s_cbranch_execz .LBB90_35
; %bb.34:
	v_mad_u64_u32 v[3:4], s[0:1], s6, 11, v[0:1]
	v_mov_b32_e32 v4, 0
	v_mov_b32_e32 v0, s9
	v_lshlrev_b64 v[3:4], 3, v[3:4]
	v_add_co_u32_e32 v3, vcc, s8, v3
	v_addc_co_u32_e32 v4, vcc, v0, v4, vcc
	global_load_dwordx2 v[7:8], v[3:4], off
	s_waitcnt vmcnt(0)
	v_fmac_f32_e32 v5, v1, v7
	v_fmac_f32_e32 v6, v2, v7
	v_fma_f32 v5, -v2, v8, v5
	v_fmac_f32_e32 v6, v1, v8
	global_store_dwordx2 v[3:4], v[5:6], off
.LBB90_35:
	s_endpgm
	.section	.rodata,"a",@progbits
	.p2align	6, 0x0
	.amdhsa_kernel _ZN9rocsparseL22gebsrmvn_mxn_16_kernelILj55ELj11ELj5E21rocsparse_complex_numIfEEEvi20rocsparse_direction_NS_24const_host_device_scalarIT2_EEPKiS8_PKS5_iiSA_S6_PS5_21rocsparse_index_base_b
		.amdhsa_group_segment_fixed_size 440
		.amdhsa_private_segment_fixed_size 0
		.amdhsa_kernarg_size 80
		.amdhsa_user_sgpr_count 6
		.amdhsa_user_sgpr_private_segment_buffer 1
		.amdhsa_user_sgpr_dispatch_ptr 0
		.amdhsa_user_sgpr_queue_ptr 0
		.amdhsa_user_sgpr_kernarg_segment_ptr 1
		.amdhsa_user_sgpr_dispatch_id 0
		.amdhsa_user_sgpr_flat_scratch_init 0
		.amdhsa_user_sgpr_private_segment_size 0
		.amdhsa_uses_dynamic_stack 0
		.amdhsa_system_sgpr_private_segment_wavefront_offset 0
		.amdhsa_system_sgpr_workgroup_id_x 1
		.amdhsa_system_sgpr_workgroup_id_y 0
		.amdhsa_system_sgpr_workgroup_id_z 0
		.amdhsa_system_sgpr_workgroup_info 0
		.amdhsa_system_vgpr_workitem_id 0
		.amdhsa_next_free_vgpr 18
		.amdhsa_next_free_sgpr 18
		.amdhsa_reserve_vcc 1
		.amdhsa_reserve_flat_scratch 0
		.amdhsa_float_round_mode_32 0
		.amdhsa_float_round_mode_16_64 0
		.amdhsa_float_denorm_mode_32 3
		.amdhsa_float_denorm_mode_16_64 3
		.amdhsa_dx10_clamp 1
		.amdhsa_ieee_mode 1
		.amdhsa_fp16_overflow 0
		.amdhsa_exception_fp_ieee_invalid_op 0
		.amdhsa_exception_fp_denorm_src 0
		.amdhsa_exception_fp_ieee_div_zero 0
		.amdhsa_exception_fp_ieee_overflow 0
		.amdhsa_exception_fp_ieee_underflow 0
		.amdhsa_exception_fp_ieee_inexact 0
		.amdhsa_exception_int_div_zero 0
	.end_amdhsa_kernel
	.section	.text._ZN9rocsparseL22gebsrmvn_mxn_16_kernelILj55ELj11ELj5E21rocsparse_complex_numIfEEEvi20rocsparse_direction_NS_24const_host_device_scalarIT2_EEPKiS8_PKS5_iiSA_S6_PS5_21rocsparse_index_base_b,"axG",@progbits,_ZN9rocsparseL22gebsrmvn_mxn_16_kernelILj55ELj11ELj5E21rocsparse_complex_numIfEEEvi20rocsparse_direction_NS_24const_host_device_scalarIT2_EEPKiS8_PKS5_iiSA_S6_PS5_21rocsparse_index_base_b,comdat
.Lfunc_end90:
	.size	_ZN9rocsparseL22gebsrmvn_mxn_16_kernelILj55ELj11ELj5E21rocsparse_complex_numIfEEEvi20rocsparse_direction_NS_24const_host_device_scalarIT2_EEPKiS8_PKS5_iiSA_S6_PS5_21rocsparse_index_base_b, .Lfunc_end90-_ZN9rocsparseL22gebsrmvn_mxn_16_kernelILj55ELj11ELj5E21rocsparse_complex_numIfEEEvi20rocsparse_direction_NS_24const_host_device_scalarIT2_EEPKiS8_PKS5_iiSA_S6_PS5_21rocsparse_index_base_b
                                        ; -- End function
	.set _ZN9rocsparseL22gebsrmvn_mxn_16_kernelILj55ELj11ELj5E21rocsparse_complex_numIfEEEvi20rocsparse_direction_NS_24const_host_device_scalarIT2_EEPKiS8_PKS5_iiSA_S6_PS5_21rocsparse_index_base_b.num_vgpr, 18
	.set _ZN9rocsparseL22gebsrmvn_mxn_16_kernelILj55ELj11ELj5E21rocsparse_complex_numIfEEEvi20rocsparse_direction_NS_24const_host_device_scalarIT2_EEPKiS8_PKS5_iiSA_S6_PS5_21rocsparse_index_base_b.num_agpr, 0
	.set _ZN9rocsparseL22gebsrmvn_mxn_16_kernelILj55ELj11ELj5E21rocsparse_complex_numIfEEEvi20rocsparse_direction_NS_24const_host_device_scalarIT2_EEPKiS8_PKS5_iiSA_S6_PS5_21rocsparse_index_base_b.numbered_sgpr, 18
	.set _ZN9rocsparseL22gebsrmvn_mxn_16_kernelILj55ELj11ELj5E21rocsparse_complex_numIfEEEvi20rocsparse_direction_NS_24const_host_device_scalarIT2_EEPKiS8_PKS5_iiSA_S6_PS5_21rocsparse_index_base_b.num_named_barrier, 0
	.set _ZN9rocsparseL22gebsrmvn_mxn_16_kernelILj55ELj11ELj5E21rocsparse_complex_numIfEEEvi20rocsparse_direction_NS_24const_host_device_scalarIT2_EEPKiS8_PKS5_iiSA_S6_PS5_21rocsparse_index_base_b.private_seg_size, 0
	.set _ZN9rocsparseL22gebsrmvn_mxn_16_kernelILj55ELj11ELj5E21rocsparse_complex_numIfEEEvi20rocsparse_direction_NS_24const_host_device_scalarIT2_EEPKiS8_PKS5_iiSA_S6_PS5_21rocsparse_index_base_b.uses_vcc, 1
	.set _ZN9rocsparseL22gebsrmvn_mxn_16_kernelILj55ELj11ELj5E21rocsparse_complex_numIfEEEvi20rocsparse_direction_NS_24const_host_device_scalarIT2_EEPKiS8_PKS5_iiSA_S6_PS5_21rocsparse_index_base_b.uses_flat_scratch, 0
	.set _ZN9rocsparseL22gebsrmvn_mxn_16_kernelILj55ELj11ELj5E21rocsparse_complex_numIfEEEvi20rocsparse_direction_NS_24const_host_device_scalarIT2_EEPKiS8_PKS5_iiSA_S6_PS5_21rocsparse_index_base_b.has_dyn_sized_stack, 0
	.set _ZN9rocsparseL22gebsrmvn_mxn_16_kernelILj55ELj11ELj5E21rocsparse_complex_numIfEEEvi20rocsparse_direction_NS_24const_host_device_scalarIT2_EEPKiS8_PKS5_iiSA_S6_PS5_21rocsparse_index_base_b.has_recursion, 0
	.set _ZN9rocsparseL22gebsrmvn_mxn_16_kernelILj55ELj11ELj5E21rocsparse_complex_numIfEEEvi20rocsparse_direction_NS_24const_host_device_scalarIT2_EEPKiS8_PKS5_iiSA_S6_PS5_21rocsparse_index_base_b.has_indirect_call, 0
	.section	.AMDGPU.csdata,"",@progbits
; Kernel info:
; codeLenInByte = 1156
; TotalNumSgprs: 22
; NumVgprs: 18
; ScratchSize: 0
; MemoryBound: 0
; FloatMode: 240
; IeeeMode: 1
; LDSByteSize: 440 bytes/workgroup (compile time only)
; SGPRBlocks: 2
; VGPRBlocks: 4
; NumSGPRsForWavesPerEU: 22
; NumVGPRsForWavesPerEU: 18
; Occupancy: 10
; WaveLimiterHint : 1
; COMPUTE_PGM_RSRC2:SCRATCH_EN: 0
; COMPUTE_PGM_RSRC2:USER_SGPR: 6
; COMPUTE_PGM_RSRC2:TRAP_HANDLER: 0
; COMPUTE_PGM_RSRC2:TGID_X_EN: 1
; COMPUTE_PGM_RSRC2:TGID_Y_EN: 0
; COMPUTE_PGM_RSRC2:TGID_Z_EN: 0
; COMPUTE_PGM_RSRC2:TIDIG_COMP_CNT: 0
	.section	.text._ZN9rocsparseL22gebsrmvn_mxn_16_kernelILj66ELj11ELj6E21rocsparse_complex_numIfEEEvi20rocsparse_direction_NS_24const_host_device_scalarIT2_EEPKiS8_PKS5_iiSA_S6_PS5_21rocsparse_index_base_b,"axG",@progbits,_ZN9rocsparseL22gebsrmvn_mxn_16_kernelILj66ELj11ELj6E21rocsparse_complex_numIfEEEvi20rocsparse_direction_NS_24const_host_device_scalarIT2_EEPKiS8_PKS5_iiSA_S6_PS5_21rocsparse_index_base_b,comdat
	.globl	_ZN9rocsparseL22gebsrmvn_mxn_16_kernelILj66ELj11ELj6E21rocsparse_complex_numIfEEEvi20rocsparse_direction_NS_24const_host_device_scalarIT2_EEPKiS8_PKS5_iiSA_S6_PS5_21rocsparse_index_base_b ; -- Begin function _ZN9rocsparseL22gebsrmvn_mxn_16_kernelILj66ELj11ELj6E21rocsparse_complex_numIfEEEvi20rocsparse_direction_NS_24const_host_device_scalarIT2_EEPKiS8_PKS5_iiSA_S6_PS5_21rocsparse_index_base_b
	.p2align	8
	.type	_ZN9rocsparseL22gebsrmvn_mxn_16_kernelILj66ELj11ELj6E21rocsparse_complex_numIfEEEvi20rocsparse_direction_NS_24const_host_device_scalarIT2_EEPKiS8_PKS5_iiSA_S6_PS5_21rocsparse_index_base_b,@function
_ZN9rocsparseL22gebsrmvn_mxn_16_kernelILj66ELj11ELj6E21rocsparse_complex_numIfEEEvi20rocsparse_direction_NS_24const_host_device_scalarIT2_EEPKiS8_PKS5_iiSA_S6_PS5_21rocsparse_index_base_b: ; @_ZN9rocsparseL22gebsrmvn_mxn_16_kernelILj66ELj11ELj6E21rocsparse_complex_numIfEEEvi20rocsparse_direction_NS_24const_host_device_scalarIT2_EEPKiS8_PKS5_iiSA_S6_PS5_21rocsparse_index_base_b
; %bb.0:
	s_load_dwordx2 s[0:1], s[4:5], 0x8
	s_load_dwordx2 s[2:3], s[4:5], 0x38
	;; [unrolled: 1-line block ×3, first 2 shown]
	s_add_u32 s7, s4, 8
	s_addc_u32 s8, s5, 0
	s_add_u32 s9, s4, 56
	s_addc_u32 s12, s5, 0
	s_waitcnt lgkmcnt(0)
	s_bitcmp1_b32 s11, 0
	s_cselect_b32 s1, s8, s1
	s_cselect_b32 s0, s7, s0
	v_mov_b32_e32 v1, s0
	v_mov_b32_e32 v2, s1
	flat_load_dwordx2 v[3:4], v[1:2]
	s_cselect_b32 s0, s12, s3
	s_cselect_b32 s1, s9, s2
	v_mov_b32_e32 v1, s1
	v_mov_b32_e32 v2, s0
	flat_load_dwordx2 v[1:2], v[1:2]
	s_waitcnt vmcnt(0) lgkmcnt(0)
	v_cmp_eq_f32_e32 vcc, 0, v3
	v_cmp_eq_f32_e64 s[0:1], 0, v4
	s_and_b64 s[8:9], vcc, s[0:1]
	s_mov_b64 s[0:1], -1
	s_and_saveexec_b64 s[2:3], s[8:9]
; %bb.1:
	v_cmp_neq_f32_e32 vcc, 1.0, v1
	v_cmp_neq_f32_e64 s[0:1], 0, v2
	s_or_b64 s[0:1], vcc, s[0:1]
	s_orn2_b64 s[0:1], s[0:1], exec
; %bb.2:
	s_or_b64 exec, exec, s[2:3]
	s_and_saveexec_b64 s[2:3], s[0:1]
	s_cbranch_execz .LBB91_35
; %bb.3:
	s_load_dwordx2 s[0:1], s[4:5], 0x10
	s_load_dword s2, s[4:5], 0x4
	v_mul_u32_u24_e32 v6, 0x2aab, v0
	v_mov_b32_e32 v5, 6
	v_mul_lo_u16_sdwa v6, v6, v5 dst_sel:DWORD dst_unused:UNUSED_PAD src0_sel:WORD_1 src1_sel:DWORD
	v_sub_u16_e32 v12, v0, v6
	s_waitcnt lgkmcnt(0)
	s_cmp_lg_u32 s2, 1
	s_cselect_b64 s[12:13], -1, 0
	s_and_b64 vcc, exec, s[12:13]
	v_mov_b32_e32 v7, v12
	s_cbranch_vccnz .LBB91_5
; %bb.4:
	s_movk_i32 s2, 0x1746
	v_mul_u32_u24_sdwa v6, v0, s2 dst_sel:DWORD dst_unused:UNUSED_PAD src0_sel:WORD_0 src1_sel:DWORD
	v_mov_b32_e32 v7, 43
	v_mul_lo_u16_sdwa v7, v6, v7 dst_sel:DWORD dst_unused:UNUSED_PAD src0_sel:WORD_1 src1_sel:DWORD
	v_mul_lo_u16_sdwa v5, v7, v5 dst_sel:DWORD dst_unused:UNUSED_PAD src0_sel:BYTE_1 src1_sel:DWORD
	v_sub_u16_sdwa v5, v6, v5 dst_sel:DWORD dst_unused:UNUSED_PAD src0_sel:WORD_1 src1_sel:DWORD
	v_and_b32_e32 v7, 0xff, v5
.LBB91_5:
	s_ashr_i32 s7, s6, 31
	s_lshl_b64 s[2:3], s[6:7], 2
	s_add_u32 s0, s0, s2
	s_addc_u32 s1, s1, s3
	s_load_dwordx2 s[16:17], s[0:1], 0x0
	s_load_dwordx2 s[8:9], s[4:5], 0x40
	v_mov_b32_e32 v6, 0
	v_mov_b32_e32 v5, 0
	s_waitcnt lgkmcnt(0)
	s_cmp_ge_i32 s16, s17
	s_cbranch_scc1 .LBB91_10
; %bb.6:
	s_load_dwordx4 s[0:3], s[4:5], 0x18
	s_load_dwordx2 s[14:15], s[4:5], 0x30
	s_movk_i32 s4, 0x3e1
	v_mul_u32_u24_sdwa v13, v0, s4 dst_sel:DWORD dst_unused:UNUSED_PAD src0_sel:WORD_0 src1_sel:DWORD
	s_mul_i32 s4, s16, 0x42
	v_add_u32_e32 v5, s4, v0
	s_mul_i32 s4, s10, 0x42
	v_mov_b32_e32 v9, 0
	s_sub_i32 s7, s17, s10
	s_sub_i32 s11, s16, s10
	v_subrev_u32_e32 v8, s4, v5
	v_mov_b32_e32 v6, v9
	v_mov_b32_e32 v5, v9
	s_branch .LBB91_8
.LBB91_7:                               ;   in Loop: Header=BB91_8 Depth=1
	s_or_b64 exec, exec, s[4:5]
	s_add_i32 s11, s11, 1
	s_cmp_ge_i32 s11, s7
	v_add_u32_e32 v8, 0x42, v8
	s_cbranch_scc1 .LBB91_10
.LBB91_8:                               ; =>This Inner Loop Header: Depth=1
	v_add_u32_sdwa v10, v13, s11 dst_sel:DWORD dst_unused:UNUSED_PAD src0_sel:WORD_1 src1_sel:DWORD
	v_cmp_gt_i32_e32 vcc, s7, v10
	s_and_saveexec_b64 s[4:5], vcc
	s_cbranch_execz .LBB91_7
; %bb.9:                                ;   in Loop: Header=BB91_8 Depth=1
	v_ashrrev_i32_e32 v11, 31, v10
	v_lshlrev_b64 v[10:11], 2, v[10:11]
	s_waitcnt lgkmcnt(0)
	v_mov_b32_e32 v14, s1
	v_add_co_u32_e32 v10, vcc, s0, v10
	v_addc_co_u32_e32 v11, vcc, v14, v11, vcc
	global_load_dword v14, v[10:11], off
	v_lshlrev_b64 v[10:11], 3, v[8:9]
	v_mov_b32_e32 v16, s3
	v_add_co_u32_e32 v10, vcc, s2, v10
	v_addc_co_u32_e32 v11, vcc, v16, v11, vcc
	v_mov_b32_e32 v17, s15
	global_load_dwordx2 v[10:11], v[10:11], off
	s_waitcnt vmcnt(1)
	v_subrev_u32_e32 v14, s10, v14
	v_mad_u64_u32 v[14:15], s[16:17], v14, 6, v[7:8]
	v_ashrrev_i32_e32 v15, 31, v14
	v_lshlrev_b64 v[14:15], 3, v[14:15]
	v_add_co_u32_e32 v14, vcc, s14, v14
	v_addc_co_u32_e32 v15, vcc, v17, v15, vcc
	global_load_dwordx2 v[14:15], v[14:15], off
	s_waitcnt vmcnt(0)
	v_fmac_f32_e32 v5, v10, v14
	v_fmac_f32_e32 v6, v11, v14
	v_fma_f32 v5, -v11, v15, v5
	v_fmac_f32_e32 v6, v10, v15
	s_branch .LBB91_7
.LBB91_10:
	v_lshlrev_b32_e32 v9, 3, v0
	s_and_b64 vcc, exec, s[12:13]
	ds_write_b64 v9, v[5:6]
	s_waitcnt lgkmcnt(0)
	s_barrier
	s_cbranch_vccz .LBB91_20
; %bb.11:
	v_cmp_gt_u16_e32 vcc, 2, v12
	s_and_saveexec_b64 s[0:1], vcc
	s_cbranch_execz .LBB91_13
; %bb.12:
	ds_read2_b64 v[13:16], v9 offset1:4
	s_waitcnt lgkmcnt(0)
	v_add_f32_e32 v7, v15, v13
	v_add_f32_e32 v8, v16, v14
	ds_write_b64 v9, v[7:8]
.LBB91_13:
	s_or_b64 exec, exec, s[0:1]
	s_waitcnt lgkmcnt(0)
	s_barrier
	s_and_saveexec_b64 s[0:1], vcc
	s_cbranch_execz .LBB91_15
; %bb.14:
	ds_read2_b64 v[13:16], v9 offset1:2
	s_waitcnt lgkmcnt(0)
	v_add_f32_e32 v7, v15, v13
	v_add_f32_e32 v8, v16, v14
	ds_write_b64 v9, v[7:8]
.LBB91_15:
	s_or_b64 exec, exec, s[0:1]
	v_cmp_eq_u16_e32 vcc, 0, v12
	s_waitcnt lgkmcnt(0)
	s_barrier
	s_and_saveexec_b64 s[0:1], vcc
	s_cbranch_execz .LBB91_17
; %bb.16:
	ds_read2_b64 v[10:13], v9 offset1:1
	s_waitcnt lgkmcnt(0)
	v_add_f32_e32 v7, v12, v10
	v_add_f32_e32 v8, v13, v11
	ds_write_b64 v9, v[7:8]
.LBB91_17:
	s_or_b64 exec, exec, s[0:1]
	v_cmp_gt_u32_e32 vcc, 11, v0
	v_mov_b32_e32 v8, v6
	v_mov_b32_e32 v7, v5
	s_waitcnt lgkmcnt(0)
	s_barrier
	s_and_saveexec_b64 s[0:1], vcc
; %bb.18:
	v_mad_u32_u24 v7, v0, 40, v9
	ds_read_b64 v[7:8], v7
; %bb.19:
	s_or_b64 exec, exec, s[0:1]
	s_branch .LBB91_30
.LBB91_20:
                                        ; implicit-def: $vgpr8
	s_cbranch_execz .LBB91_30
; %bb.21:
	v_cmp_gt_u32_e32 vcc, 22, v0
	s_and_saveexec_b64 s[0:1], vcc
	s_cbranch_execz .LBB91_23
; %bb.22:
	ds_read2_b64 v[10:13], v9 offset1:44
	s_waitcnt lgkmcnt(0)
	v_add_f32_e32 v7, v12, v10
	v_add_f32_e32 v8, v13, v11
	ds_write_b64 v9, v[7:8]
.LBB91_23:
	s_or_b64 exec, exec, s[0:1]
	s_waitcnt lgkmcnt(0)
	s_barrier
	s_and_saveexec_b64 s[0:1], vcc
	s_cbranch_execz .LBB91_25
; %bb.24:
	ds_read2_b64 v[10:13], v9 offset1:22
	s_waitcnt lgkmcnt(0)
	v_add_f32_e32 v7, v12, v10
	v_add_f32_e32 v8, v13, v11
	ds_write_b64 v9, v[7:8]
.LBB91_25:
	s_or_b64 exec, exec, s[0:1]
	v_cmp_lt_u32_e32 vcc, 10, v0
	s_waitcnt lgkmcnt(0)
	s_and_saveexec_b64 s[0:1], vcc
	s_xor_b64 s[0:1], exec, s[0:1]
; %bb.26:
                                        ; implicit-def: $vgpr9
; %bb.27:
	s_andn2_saveexec_b64 s[0:1], s[0:1]
	s_cbranch_execz .LBB91_29
; %bb.28:
	ds_read2_b64 v[5:8], v9 offset1:11
	s_waitcnt lgkmcnt(0)
	v_add_f32_e32 v5, v7, v5
	v_add_f32_e32 v6, v8, v6
	ds_write_b64 v9, v[5:6]
	s_waitcnt lgkmcnt(0)
	ds_read_b64 v[5:6], v9
.LBB91_29:
	s_or_b64 exec, exec, s[0:1]
	s_waitcnt lgkmcnt(0)
	v_mov_b32_e32 v8, v6
	v_mov_b32_e32 v7, v5
.LBB91_30:
	v_cmp_gt_u32_e32 vcc, 11, v0
	s_and_b64 exec, exec, vcc
	s_cbranch_execz .LBB91_35
; %bb.31:
	v_cmp_eq_f32_e32 vcc, 0, v1
	v_cmp_eq_f32_e64 s[0:1], 0, v2
	s_waitcnt lgkmcnt(0)
	v_mul_f32_e64 v5, v8, -v4
	v_mul_f32_e32 v6, v3, v8
	s_and_b64 s[0:1], vcc, s[0:1]
	v_fmac_f32_e32 v5, v3, v7
	v_fmac_f32_e32 v6, v4, v7
	s_and_saveexec_b64 s[2:3], s[0:1]
	s_xor_b64 s[0:1], exec, s[2:3]
	s_cbranch_execz .LBB91_33
; %bb.32:
	v_mad_u64_u32 v[0:1], s[2:3], s6, 11, v[0:1]
	v_mov_b32_e32 v1, 0
	v_mov_b32_e32 v2, s9
	v_lshlrev_b64 v[0:1], 3, v[0:1]
	v_add_co_u32_e32 v0, vcc, s8, v0
	v_addc_co_u32_e32 v1, vcc, v2, v1, vcc
	global_store_dwordx2 v[0:1], v[5:6], off
                                        ; implicit-def: $vgpr0
                                        ; implicit-def: $vgpr1_vgpr2
                                        ; implicit-def: $vgpr5
.LBB91_33:
	s_andn2_saveexec_b64 s[0:1], s[0:1]
	s_cbranch_execz .LBB91_35
; %bb.34:
	v_mad_u64_u32 v[3:4], s[0:1], s6, 11, v[0:1]
	v_mov_b32_e32 v4, 0
	v_mov_b32_e32 v0, s9
	v_lshlrev_b64 v[3:4], 3, v[3:4]
	v_add_co_u32_e32 v3, vcc, s8, v3
	v_addc_co_u32_e32 v4, vcc, v0, v4, vcc
	global_load_dwordx2 v[7:8], v[3:4], off
	s_waitcnt vmcnt(0)
	v_fmac_f32_e32 v5, v1, v7
	v_fmac_f32_e32 v6, v2, v7
	v_fma_f32 v5, -v2, v8, v5
	v_fmac_f32_e32 v6, v1, v8
	global_store_dwordx2 v[3:4], v[5:6], off
.LBB91_35:
	s_endpgm
	.section	.rodata,"a",@progbits
	.p2align	6, 0x0
	.amdhsa_kernel _ZN9rocsparseL22gebsrmvn_mxn_16_kernelILj66ELj11ELj6E21rocsparse_complex_numIfEEEvi20rocsparse_direction_NS_24const_host_device_scalarIT2_EEPKiS8_PKS5_iiSA_S6_PS5_21rocsparse_index_base_b
		.amdhsa_group_segment_fixed_size 528
		.amdhsa_private_segment_fixed_size 0
		.amdhsa_kernarg_size 80
		.amdhsa_user_sgpr_count 6
		.amdhsa_user_sgpr_private_segment_buffer 1
		.amdhsa_user_sgpr_dispatch_ptr 0
		.amdhsa_user_sgpr_queue_ptr 0
		.amdhsa_user_sgpr_kernarg_segment_ptr 1
		.amdhsa_user_sgpr_dispatch_id 0
		.amdhsa_user_sgpr_flat_scratch_init 0
		.amdhsa_user_sgpr_private_segment_size 0
		.amdhsa_uses_dynamic_stack 0
		.amdhsa_system_sgpr_private_segment_wavefront_offset 0
		.amdhsa_system_sgpr_workgroup_id_x 1
		.amdhsa_system_sgpr_workgroup_id_y 0
		.amdhsa_system_sgpr_workgroup_id_z 0
		.amdhsa_system_sgpr_workgroup_info 0
		.amdhsa_system_vgpr_workitem_id 0
		.amdhsa_next_free_vgpr 18
		.amdhsa_next_free_sgpr 18
		.amdhsa_reserve_vcc 1
		.amdhsa_reserve_flat_scratch 0
		.amdhsa_float_round_mode_32 0
		.amdhsa_float_round_mode_16_64 0
		.amdhsa_float_denorm_mode_32 3
		.amdhsa_float_denorm_mode_16_64 3
		.amdhsa_dx10_clamp 1
		.amdhsa_ieee_mode 1
		.amdhsa_fp16_overflow 0
		.amdhsa_exception_fp_ieee_invalid_op 0
		.amdhsa_exception_fp_denorm_src 0
		.amdhsa_exception_fp_ieee_div_zero 0
		.amdhsa_exception_fp_ieee_overflow 0
		.amdhsa_exception_fp_ieee_underflow 0
		.amdhsa_exception_fp_ieee_inexact 0
		.amdhsa_exception_int_div_zero 0
	.end_amdhsa_kernel
	.section	.text._ZN9rocsparseL22gebsrmvn_mxn_16_kernelILj66ELj11ELj6E21rocsparse_complex_numIfEEEvi20rocsparse_direction_NS_24const_host_device_scalarIT2_EEPKiS8_PKS5_iiSA_S6_PS5_21rocsparse_index_base_b,"axG",@progbits,_ZN9rocsparseL22gebsrmvn_mxn_16_kernelILj66ELj11ELj6E21rocsparse_complex_numIfEEEvi20rocsparse_direction_NS_24const_host_device_scalarIT2_EEPKiS8_PKS5_iiSA_S6_PS5_21rocsparse_index_base_b,comdat
.Lfunc_end91:
	.size	_ZN9rocsparseL22gebsrmvn_mxn_16_kernelILj66ELj11ELj6E21rocsparse_complex_numIfEEEvi20rocsparse_direction_NS_24const_host_device_scalarIT2_EEPKiS8_PKS5_iiSA_S6_PS5_21rocsparse_index_base_b, .Lfunc_end91-_ZN9rocsparseL22gebsrmvn_mxn_16_kernelILj66ELj11ELj6E21rocsparse_complex_numIfEEEvi20rocsparse_direction_NS_24const_host_device_scalarIT2_EEPKiS8_PKS5_iiSA_S6_PS5_21rocsparse_index_base_b
                                        ; -- End function
	.set _ZN9rocsparseL22gebsrmvn_mxn_16_kernelILj66ELj11ELj6E21rocsparse_complex_numIfEEEvi20rocsparse_direction_NS_24const_host_device_scalarIT2_EEPKiS8_PKS5_iiSA_S6_PS5_21rocsparse_index_base_b.num_vgpr, 18
	.set _ZN9rocsparseL22gebsrmvn_mxn_16_kernelILj66ELj11ELj6E21rocsparse_complex_numIfEEEvi20rocsparse_direction_NS_24const_host_device_scalarIT2_EEPKiS8_PKS5_iiSA_S6_PS5_21rocsparse_index_base_b.num_agpr, 0
	.set _ZN9rocsparseL22gebsrmvn_mxn_16_kernelILj66ELj11ELj6E21rocsparse_complex_numIfEEEvi20rocsparse_direction_NS_24const_host_device_scalarIT2_EEPKiS8_PKS5_iiSA_S6_PS5_21rocsparse_index_base_b.numbered_sgpr, 18
	.set _ZN9rocsparseL22gebsrmvn_mxn_16_kernelILj66ELj11ELj6E21rocsparse_complex_numIfEEEvi20rocsparse_direction_NS_24const_host_device_scalarIT2_EEPKiS8_PKS5_iiSA_S6_PS5_21rocsparse_index_base_b.num_named_barrier, 0
	.set _ZN9rocsparseL22gebsrmvn_mxn_16_kernelILj66ELj11ELj6E21rocsparse_complex_numIfEEEvi20rocsparse_direction_NS_24const_host_device_scalarIT2_EEPKiS8_PKS5_iiSA_S6_PS5_21rocsparse_index_base_b.private_seg_size, 0
	.set _ZN9rocsparseL22gebsrmvn_mxn_16_kernelILj66ELj11ELj6E21rocsparse_complex_numIfEEEvi20rocsparse_direction_NS_24const_host_device_scalarIT2_EEPKiS8_PKS5_iiSA_S6_PS5_21rocsparse_index_base_b.uses_vcc, 1
	.set _ZN9rocsparseL22gebsrmvn_mxn_16_kernelILj66ELj11ELj6E21rocsparse_complex_numIfEEEvi20rocsparse_direction_NS_24const_host_device_scalarIT2_EEPKiS8_PKS5_iiSA_S6_PS5_21rocsparse_index_base_b.uses_flat_scratch, 0
	.set _ZN9rocsparseL22gebsrmvn_mxn_16_kernelILj66ELj11ELj6E21rocsparse_complex_numIfEEEvi20rocsparse_direction_NS_24const_host_device_scalarIT2_EEPKiS8_PKS5_iiSA_S6_PS5_21rocsparse_index_base_b.has_dyn_sized_stack, 0
	.set _ZN9rocsparseL22gebsrmvn_mxn_16_kernelILj66ELj11ELj6E21rocsparse_complex_numIfEEEvi20rocsparse_direction_NS_24const_host_device_scalarIT2_EEPKiS8_PKS5_iiSA_S6_PS5_21rocsparse_index_base_b.has_recursion, 0
	.set _ZN9rocsparseL22gebsrmvn_mxn_16_kernelILj66ELj11ELj6E21rocsparse_complex_numIfEEEvi20rocsparse_direction_NS_24const_host_device_scalarIT2_EEPKiS8_PKS5_iiSA_S6_PS5_21rocsparse_index_base_b.has_indirect_call, 0
	.section	.AMDGPU.csdata,"",@progbits
; Kernel info:
; codeLenInByte = 1164
; TotalNumSgprs: 22
; NumVgprs: 18
; ScratchSize: 0
; MemoryBound: 0
; FloatMode: 240
; IeeeMode: 1
; LDSByteSize: 528 bytes/workgroup (compile time only)
; SGPRBlocks: 2
; VGPRBlocks: 4
; NumSGPRsForWavesPerEU: 22
; NumVGPRsForWavesPerEU: 18
; Occupancy: 10
; WaveLimiterHint : 1
; COMPUTE_PGM_RSRC2:SCRATCH_EN: 0
; COMPUTE_PGM_RSRC2:USER_SGPR: 6
; COMPUTE_PGM_RSRC2:TRAP_HANDLER: 0
; COMPUTE_PGM_RSRC2:TGID_X_EN: 1
; COMPUTE_PGM_RSRC2:TGID_Y_EN: 0
; COMPUTE_PGM_RSRC2:TGID_Z_EN: 0
; COMPUTE_PGM_RSRC2:TIDIG_COMP_CNT: 0
	.section	.text._ZN9rocsparseL22gebsrmvn_mxn_16_kernelILj77ELj11ELj7E21rocsparse_complex_numIfEEEvi20rocsparse_direction_NS_24const_host_device_scalarIT2_EEPKiS8_PKS5_iiSA_S6_PS5_21rocsparse_index_base_b,"axG",@progbits,_ZN9rocsparseL22gebsrmvn_mxn_16_kernelILj77ELj11ELj7E21rocsparse_complex_numIfEEEvi20rocsparse_direction_NS_24const_host_device_scalarIT2_EEPKiS8_PKS5_iiSA_S6_PS5_21rocsparse_index_base_b,comdat
	.globl	_ZN9rocsparseL22gebsrmvn_mxn_16_kernelILj77ELj11ELj7E21rocsparse_complex_numIfEEEvi20rocsparse_direction_NS_24const_host_device_scalarIT2_EEPKiS8_PKS5_iiSA_S6_PS5_21rocsparse_index_base_b ; -- Begin function _ZN9rocsparseL22gebsrmvn_mxn_16_kernelILj77ELj11ELj7E21rocsparse_complex_numIfEEEvi20rocsparse_direction_NS_24const_host_device_scalarIT2_EEPKiS8_PKS5_iiSA_S6_PS5_21rocsparse_index_base_b
	.p2align	8
	.type	_ZN9rocsparseL22gebsrmvn_mxn_16_kernelILj77ELj11ELj7E21rocsparse_complex_numIfEEEvi20rocsparse_direction_NS_24const_host_device_scalarIT2_EEPKiS8_PKS5_iiSA_S6_PS5_21rocsparse_index_base_b,@function
_ZN9rocsparseL22gebsrmvn_mxn_16_kernelILj77ELj11ELj7E21rocsparse_complex_numIfEEEvi20rocsparse_direction_NS_24const_host_device_scalarIT2_EEPKiS8_PKS5_iiSA_S6_PS5_21rocsparse_index_base_b: ; @_ZN9rocsparseL22gebsrmvn_mxn_16_kernelILj77ELj11ELj7E21rocsparse_complex_numIfEEEvi20rocsparse_direction_NS_24const_host_device_scalarIT2_EEPKiS8_PKS5_iiSA_S6_PS5_21rocsparse_index_base_b
; %bb.0:
	s_load_dwordx2 s[0:1], s[4:5], 0x8
	s_load_dwordx2 s[2:3], s[4:5], 0x38
	;; [unrolled: 1-line block ×3, first 2 shown]
	s_add_u32 s7, s4, 8
	s_addc_u32 s8, s5, 0
	s_add_u32 s9, s4, 56
	s_addc_u32 s12, s5, 0
	s_waitcnt lgkmcnt(0)
	s_bitcmp1_b32 s11, 0
	s_cselect_b32 s1, s8, s1
	s_cselect_b32 s0, s7, s0
	v_mov_b32_e32 v1, s0
	v_mov_b32_e32 v2, s1
	flat_load_dwordx2 v[3:4], v[1:2]
	s_cselect_b32 s0, s12, s3
	s_cselect_b32 s1, s9, s2
	v_mov_b32_e32 v1, s1
	v_mov_b32_e32 v2, s0
	flat_load_dwordx2 v[1:2], v[1:2]
	s_waitcnt vmcnt(0) lgkmcnt(0)
	v_cmp_eq_f32_e32 vcc, 0, v3
	v_cmp_eq_f32_e64 s[0:1], 0, v4
	s_and_b64 s[8:9], vcc, s[0:1]
	s_mov_b64 s[0:1], -1
	s_and_saveexec_b64 s[2:3], s[8:9]
; %bb.1:
	v_cmp_neq_f32_e32 vcc, 1.0, v1
	v_cmp_neq_f32_e64 s[0:1], 0, v2
	s_or_b64 s[0:1], vcc, s[0:1]
	s_orn2_b64 s[0:1], s[0:1], exec
; %bb.2:
	s_or_b64 exec, exec, s[2:3]
	s_and_saveexec_b64 s[2:3], s[0:1]
	s_cbranch_execz .LBB92_35
; %bb.3:
	s_load_dwordx2 s[0:1], s[4:5], 0x10
	s_load_dword s2, s[4:5], 0x4
	v_mul_u32_u24_e32 v6, 0x2493, v0
	v_mov_b32_e32 v5, 7
	v_mul_lo_u16_sdwa v6, v6, v5 dst_sel:DWORD dst_unused:UNUSED_PAD src0_sel:WORD_1 src1_sel:DWORD
	v_sub_u16_e32 v12, v0, v6
	s_waitcnt lgkmcnt(0)
	s_cmp_lg_u32 s2, 1
	s_cselect_b64 s[12:13], -1, 0
	s_and_b64 vcc, exec, s[12:13]
	v_mov_b32_e32 v7, v12
	s_cbranch_vccnz .LBB92_5
; %bb.4:
	s_movk_i32 s2, 0x1746
	v_mul_u32_u24_sdwa v6, v0, s2 dst_sel:DWORD dst_unused:UNUSED_PAD src0_sel:WORD_0 src1_sel:DWORD
	v_mov_b32_e32 v7, 37
	v_mul_lo_u16_sdwa v7, v6, v7 dst_sel:DWORD dst_unused:UNUSED_PAD src0_sel:WORD_1 src1_sel:DWORD
	v_mul_lo_u16_sdwa v5, v7, v5 dst_sel:DWORD dst_unused:UNUSED_PAD src0_sel:BYTE_1 src1_sel:DWORD
	v_sub_u16_sdwa v5, v6, v5 dst_sel:DWORD dst_unused:UNUSED_PAD src0_sel:WORD_1 src1_sel:DWORD
	v_and_b32_e32 v7, 0xff, v5
.LBB92_5:
	s_ashr_i32 s7, s6, 31
	s_lshl_b64 s[2:3], s[6:7], 2
	s_add_u32 s0, s0, s2
	s_addc_u32 s1, s1, s3
	s_load_dwordx2 s[16:17], s[0:1], 0x0
	s_load_dwordx2 s[8:9], s[4:5], 0x40
	v_mov_b32_e32 v6, 0
	v_mov_b32_e32 v5, 0
	s_waitcnt lgkmcnt(0)
	s_cmp_ge_i32 s16, s17
	s_cbranch_scc1 .LBB92_10
; %bb.6:
	s_load_dwordx4 s[0:3], s[4:5], 0x18
	s_load_dwordx2 s[14:15], s[4:5], 0x30
	s_movk_i32 s4, 0x354
	v_mul_u32_u24_sdwa v13, v0, s4 dst_sel:DWORD dst_unused:UNUSED_PAD src0_sel:WORD_0 src1_sel:DWORD
	s_mul_i32 s4, s16, 0x4d
	v_add_u32_e32 v5, s4, v0
	s_mul_i32 s4, s10, 0x4d
	v_mov_b32_e32 v9, 0
	s_sub_i32 s7, s17, s10
	s_sub_i32 s11, s16, s10
	v_subrev_u32_e32 v8, s4, v5
	v_mov_b32_e32 v6, v9
	v_mov_b32_e32 v5, v9
	s_branch .LBB92_8
.LBB92_7:                               ;   in Loop: Header=BB92_8 Depth=1
	s_or_b64 exec, exec, s[4:5]
	s_add_i32 s11, s11, 1
	s_cmp_ge_i32 s11, s7
	v_add_u32_e32 v8, 0x4d, v8
	s_cbranch_scc1 .LBB92_10
.LBB92_8:                               ; =>This Inner Loop Header: Depth=1
	v_add_u32_sdwa v10, v13, s11 dst_sel:DWORD dst_unused:UNUSED_PAD src0_sel:WORD_1 src1_sel:DWORD
	v_cmp_gt_i32_e32 vcc, s7, v10
	s_and_saveexec_b64 s[4:5], vcc
	s_cbranch_execz .LBB92_7
; %bb.9:                                ;   in Loop: Header=BB92_8 Depth=1
	v_ashrrev_i32_e32 v11, 31, v10
	v_lshlrev_b64 v[10:11], 2, v[10:11]
	s_waitcnt lgkmcnt(0)
	v_mov_b32_e32 v14, s1
	v_add_co_u32_e32 v10, vcc, s0, v10
	v_addc_co_u32_e32 v11, vcc, v14, v11, vcc
	global_load_dword v14, v[10:11], off
	v_lshlrev_b64 v[10:11], 3, v[8:9]
	v_mov_b32_e32 v16, s3
	v_add_co_u32_e32 v10, vcc, s2, v10
	v_addc_co_u32_e32 v11, vcc, v16, v11, vcc
	v_mov_b32_e32 v17, s15
	global_load_dwordx2 v[10:11], v[10:11], off
	s_waitcnt vmcnt(1)
	v_subrev_u32_e32 v14, s10, v14
	v_mad_u64_u32 v[14:15], s[16:17], v14, 7, v[7:8]
	v_ashrrev_i32_e32 v15, 31, v14
	v_lshlrev_b64 v[14:15], 3, v[14:15]
	v_add_co_u32_e32 v14, vcc, s14, v14
	v_addc_co_u32_e32 v15, vcc, v17, v15, vcc
	global_load_dwordx2 v[14:15], v[14:15], off
	s_waitcnt vmcnt(0)
	v_fmac_f32_e32 v5, v10, v14
	v_fmac_f32_e32 v6, v11, v14
	v_fma_f32 v5, -v11, v15, v5
	v_fmac_f32_e32 v6, v10, v15
	s_branch .LBB92_7
.LBB92_10:
	v_lshlrev_b32_e32 v9, 3, v0
	s_and_b64 vcc, exec, s[12:13]
	ds_write_b64 v9, v[5:6]
	s_waitcnt lgkmcnt(0)
	s_barrier
	s_cbranch_vccz .LBB92_20
; %bb.11:
	v_cmp_gt_u16_e32 vcc, 3, v12
	s_and_saveexec_b64 s[0:1], vcc
	s_cbranch_execz .LBB92_13
; %bb.12:
	ds_read2_b64 v[13:16], v9 offset1:4
	s_waitcnt lgkmcnt(0)
	v_add_f32_e32 v7, v15, v13
	v_add_f32_e32 v8, v16, v14
	ds_write_b64 v9, v[7:8]
.LBB92_13:
	s_or_b64 exec, exec, s[0:1]
	v_cmp_gt_u16_e32 vcc, 2, v12
	s_waitcnt lgkmcnt(0)
	s_barrier
	s_and_saveexec_b64 s[0:1], vcc
	s_cbranch_execz .LBB92_15
; %bb.14:
	ds_read2_b64 v[13:16], v9 offset1:2
	s_waitcnt lgkmcnt(0)
	v_add_f32_e32 v7, v15, v13
	v_add_f32_e32 v8, v16, v14
	ds_write_b64 v9, v[7:8]
.LBB92_15:
	s_or_b64 exec, exec, s[0:1]
	v_cmp_eq_u16_e32 vcc, 0, v12
	s_waitcnt lgkmcnt(0)
	s_barrier
	s_and_saveexec_b64 s[0:1], vcc
	s_cbranch_execz .LBB92_17
; %bb.16:
	ds_read2_b64 v[10:13], v9 offset1:1
	s_waitcnt lgkmcnt(0)
	v_add_f32_e32 v7, v12, v10
	v_add_f32_e32 v8, v13, v11
	ds_write_b64 v9, v[7:8]
.LBB92_17:
	s_or_b64 exec, exec, s[0:1]
	v_cmp_gt_u32_e32 vcc, 11, v0
	v_mov_b32_e32 v8, v6
	v_mov_b32_e32 v7, v5
	s_waitcnt lgkmcnt(0)
	s_barrier
	s_and_saveexec_b64 s[0:1], vcc
; %bb.18:
	v_mad_u32_u24 v7, v0, 48, v9
	ds_read_b64 v[7:8], v7
; %bb.19:
	s_or_b64 exec, exec, s[0:1]
	s_branch .LBB92_30
.LBB92_20:
                                        ; implicit-def: $vgpr8
	s_cbranch_execz .LBB92_30
; %bb.21:
	v_cmp_gt_u32_e32 vcc, 33, v0
	s_and_saveexec_b64 s[0:1], vcc
	s_cbranch_execz .LBB92_23
; %bb.22:
	ds_read2_b64 v[10:13], v9 offset1:44
	s_waitcnt lgkmcnt(0)
	v_add_f32_e32 v7, v12, v10
	v_add_f32_e32 v8, v13, v11
	ds_write_b64 v9, v[7:8]
.LBB92_23:
	s_or_b64 exec, exec, s[0:1]
	v_cmp_gt_u32_e32 vcc, 22, v0
	s_waitcnt lgkmcnt(0)
	s_barrier
	s_and_saveexec_b64 s[0:1], vcc
	s_cbranch_execz .LBB92_25
; %bb.24:
	ds_read2_b64 v[10:13], v9 offset1:22
	s_waitcnt lgkmcnt(0)
	v_add_f32_e32 v7, v12, v10
	v_add_f32_e32 v8, v13, v11
	ds_write_b64 v9, v[7:8]
.LBB92_25:
	s_or_b64 exec, exec, s[0:1]
	v_cmp_lt_u32_e32 vcc, 10, v0
	s_waitcnt lgkmcnt(0)
	s_and_saveexec_b64 s[0:1], vcc
	s_xor_b64 s[0:1], exec, s[0:1]
; %bb.26:
                                        ; implicit-def: $vgpr9
; %bb.27:
	s_andn2_saveexec_b64 s[0:1], s[0:1]
	s_cbranch_execz .LBB92_29
; %bb.28:
	ds_read2_b64 v[5:8], v9 offset1:11
	s_waitcnt lgkmcnt(0)
	v_add_f32_e32 v5, v7, v5
	v_add_f32_e32 v6, v8, v6
	ds_write_b64 v9, v[5:6]
	s_waitcnt lgkmcnt(0)
	ds_read_b64 v[5:6], v9
.LBB92_29:
	s_or_b64 exec, exec, s[0:1]
	s_waitcnt lgkmcnt(0)
	v_mov_b32_e32 v8, v6
	v_mov_b32_e32 v7, v5
.LBB92_30:
	v_cmp_gt_u32_e32 vcc, 11, v0
	s_and_b64 exec, exec, vcc
	s_cbranch_execz .LBB92_35
; %bb.31:
	v_cmp_eq_f32_e32 vcc, 0, v1
	v_cmp_eq_f32_e64 s[0:1], 0, v2
	s_waitcnt lgkmcnt(0)
	v_mul_f32_e64 v5, v8, -v4
	v_mul_f32_e32 v6, v3, v8
	s_and_b64 s[0:1], vcc, s[0:1]
	v_fmac_f32_e32 v5, v3, v7
	v_fmac_f32_e32 v6, v4, v7
	s_and_saveexec_b64 s[2:3], s[0:1]
	s_xor_b64 s[0:1], exec, s[2:3]
	s_cbranch_execz .LBB92_33
; %bb.32:
	v_mad_u64_u32 v[0:1], s[2:3], s6, 11, v[0:1]
	v_mov_b32_e32 v1, 0
	v_mov_b32_e32 v2, s9
	v_lshlrev_b64 v[0:1], 3, v[0:1]
	v_add_co_u32_e32 v0, vcc, s8, v0
	v_addc_co_u32_e32 v1, vcc, v2, v1, vcc
	global_store_dwordx2 v[0:1], v[5:6], off
                                        ; implicit-def: $vgpr0
                                        ; implicit-def: $vgpr1_vgpr2
                                        ; implicit-def: $vgpr5
.LBB92_33:
	s_andn2_saveexec_b64 s[0:1], s[0:1]
	s_cbranch_execz .LBB92_35
; %bb.34:
	v_mad_u64_u32 v[3:4], s[0:1], s6, 11, v[0:1]
	v_mov_b32_e32 v4, 0
	v_mov_b32_e32 v0, s9
	v_lshlrev_b64 v[3:4], 3, v[3:4]
	v_add_co_u32_e32 v3, vcc, s8, v3
	v_addc_co_u32_e32 v4, vcc, v0, v4, vcc
	global_load_dwordx2 v[7:8], v[3:4], off
	s_waitcnt vmcnt(0)
	v_fmac_f32_e32 v5, v1, v7
	v_fmac_f32_e32 v6, v2, v7
	v_fma_f32 v5, -v2, v8, v5
	v_fmac_f32_e32 v6, v1, v8
	global_store_dwordx2 v[3:4], v[5:6], off
.LBB92_35:
	s_endpgm
	.section	.rodata,"a",@progbits
	.p2align	6, 0x0
	.amdhsa_kernel _ZN9rocsparseL22gebsrmvn_mxn_16_kernelILj77ELj11ELj7E21rocsparse_complex_numIfEEEvi20rocsparse_direction_NS_24const_host_device_scalarIT2_EEPKiS8_PKS5_iiSA_S6_PS5_21rocsparse_index_base_b
		.amdhsa_group_segment_fixed_size 616
		.amdhsa_private_segment_fixed_size 0
		.amdhsa_kernarg_size 80
		.amdhsa_user_sgpr_count 6
		.amdhsa_user_sgpr_private_segment_buffer 1
		.amdhsa_user_sgpr_dispatch_ptr 0
		.amdhsa_user_sgpr_queue_ptr 0
		.amdhsa_user_sgpr_kernarg_segment_ptr 1
		.amdhsa_user_sgpr_dispatch_id 0
		.amdhsa_user_sgpr_flat_scratch_init 0
		.amdhsa_user_sgpr_private_segment_size 0
		.amdhsa_uses_dynamic_stack 0
		.amdhsa_system_sgpr_private_segment_wavefront_offset 0
		.amdhsa_system_sgpr_workgroup_id_x 1
		.amdhsa_system_sgpr_workgroup_id_y 0
		.amdhsa_system_sgpr_workgroup_id_z 0
		.amdhsa_system_sgpr_workgroup_info 0
		.amdhsa_system_vgpr_workitem_id 0
		.amdhsa_next_free_vgpr 18
		.amdhsa_next_free_sgpr 18
		.amdhsa_reserve_vcc 1
		.amdhsa_reserve_flat_scratch 0
		.amdhsa_float_round_mode_32 0
		.amdhsa_float_round_mode_16_64 0
		.amdhsa_float_denorm_mode_32 3
		.amdhsa_float_denorm_mode_16_64 3
		.amdhsa_dx10_clamp 1
		.amdhsa_ieee_mode 1
		.amdhsa_fp16_overflow 0
		.amdhsa_exception_fp_ieee_invalid_op 0
		.amdhsa_exception_fp_denorm_src 0
		.amdhsa_exception_fp_ieee_div_zero 0
		.amdhsa_exception_fp_ieee_overflow 0
		.amdhsa_exception_fp_ieee_underflow 0
		.amdhsa_exception_fp_ieee_inexact 0
		.amdhsa_exception_int_div_zero 0
	.end_amdhsa_kernel
	.section	.text._ZN9rocsparseL22gebsrmvn_mxn_16_kernelILj77ELj11ELj7E21rocsparse_complex_numIfEEEvi20rocsparse_direction_NS_24const_host_device_scalarIT2_EEPKiS8_PKS5_iiSA_S6_PS5_21rocsparse_index_base_b,"axG",@progbits,_ZN9rocsparseL22gebsrmvn_mxn_16_kernelILj77ELj11ELj7E21rocsparse_complex_numIfEEEvi20rocsparse_direction_NS_24const_host_device_scalarIT2_EEPKiS8_PKS5_iiSA_S6_PS5_21rocsparse_index_base_b,comdat
.Lfunc_end92:
	.size	_ZN9rocsparseL22gebsrmvn_mxn_16_kernelILj77ELj11ELj7E21rocsparse_complex_numIfEEEvi20rocsparse_direction_NS_24const_host_device_scalarIT2_EEPKiS8_PKS5_iiSA_S6_PS5_21rocsparse_index_base_b, .Lfunc_end92-_ZN9rocsparseL22gebsrmvn_mxn_16_kernelILj77ELj11ELj7E21rocsparse_complex_numIfEEEvi20rocsparse_direction_NS_24const_host_device_scalarIT2_EEPKiS8_PKS5_iiSA_S6_PS5_21rocsparse_index_base_b
                                        ; -- End function
	.set _ZN9rocsparseL22gebsrmvn_mxn_16_kernelILj77ELj11ELj7E21rocsparse_complex_numIfEEEvi20rocsparse_direction_NS_24const_host_device_scalarIT2_EEPKiS8_PKS5_iiSA_S6_PS5_21rocsparse_index_base_b.num_vgpr, 18
	.set _ZN9rocsparseL22gebsrmvn_mxn_16_kernelILj77ELj11ELj7E21rocsparse_complex_numIfEEEvi20rocsparse_direction_NS_24const_host_device_scalarIT2_EEPKiS8_PKS5_iiSA_S6_PS5_21rocsparse_index_base_b.num_agpr, 0
	.set _ZN9rocsparseL22gebsrmvn_mxn_16_kernelILj77ELj11ELj7E21rocsparse_complex_numIfEEEvi20rocsparse_direction_NS_24const_host_device_scalarIT2_EEPKiS8_PKS5_iiSA_S6_PS5_21rocsparse_index_base_b.numbered_sgpr, 18
	.set _ZN9rocsparseL22gebsrmvn_mxn_16_kernelILj77ELj11ELj7E21rocsparse_complex_numIfEEEvi20rocsparse_direction_NS_24const_host_device_scalarIT2_EEPKiS8_PKS5_iiSA_S6_PS5_21rocsparse_index_base_b.num_named_barrier, 0
	.set _ZN9rocsparseL22gebsrmvn_mxn_16_kernelILj77ELj11ELj7E21rocsparse_complex_numIfEEEvi20rocsparse_direction_NS_24const_host_device_scalarIT2_EEPKiS8_PKS5_iiSA_S6_PS5_21rocsparse_index_base_b.private_seg_size, 0
	.set _ZN9rocsparseL22gebsrmvn_mxn_16_kernelILj77ELj11ELj7E21rocsparse_complex_numIfEEEvi20rocsparse_direction_NS_24const_host_device_scalarIT2_EEPKiS8_PKS5_iiSA_S6_PS5_21rocsparse_index_base_b.uses_vcc, 1
	.set _ZN9rocsparseL22gebsrmvn_mxn_16_kernelILj77ELj11ELj7E21rocsparse_complex_numIfEEEvi20rocsparse_direction_NS_24const_host_device_scalarIT2_EEPKiS8_PKS5_iiSA_S6_PS5_21rocsparse_index_base_b.uses_flat_scratch, 0
	.set _ZN9rocsparseL22gebsrmvn_mxn_16_kernelILj77ELj11ELj7E21rocsparse_complex_numIfEEEvi20rocsparse_direction_NS_24const_host_device_scalarIT2_EEPKiS8_PKS5_iiSA_S6_PS5_21rocsparse_index_base_b.has_dyn_sized_stack, 0
	.set _ZN9rocsparseL22gebsrmvn_mxn_16_kernelILj77ELj11ELj7E21rocsparse_complex_numIfEEEvi20rocsparse_direction_NS_24const_host_device_scalarIT2_EEPKiS8_PKS5_iiSA_S6_PS5_21rocsparse_index_base_b.has_recursion, 0
	.set _ZN9rocsparseL22gebsrmvn_mxn_16_kernelILj77ELj11ELj7E21rocsparse_complex_numIfEEEvi20rocsparse_direction_NS_24const_host_device_scalarIT2_EEPKiS8_PKS5_iiSA_S6_PS5_21rocsparse_index_base_b.has_indirect_call, 0
	.section	.AMDGPU.csdata,"",@progbits
; Kernel info:
; codeLenInByte = 1172
; TotalNumSgprs: 22
; NumVgprs: 18
; ScratchSize: 0
; MemoryBound: 0
; FloatMode: 240
; IeeeMode: 1
; LDSByteSize: 616 bytes/workgroup (compile time only)
; SGPRBlocks: 2
; VGPRBlocks: 4
; NumSGPRsForWavesPerEU: 22
; NumVGPRsForWavesPerEU: 18
; Occupancy: 10
; WaveLimiterHint : 1
; COMPUTE_PGM_RSRC2:SCRATCH_EN: 0
; COMPUTE_PGM_RSRC2:USER_SGPR: 6
; COMPUTE_PGM_RSRC2:TRAP_HANDLER: 0
; COMPUTE_PGM_RSRC2:TGID_X_EN: 1
; COMPUTE_PGM_RSRC2:TGID_Y_EN: 0
; COMPUTE_PGM_RSRC2:TGID_Z_EN: 0
; COMPUTE_PGM_RSRC2:TIDIG_COMP_CNT: 0
	.section	.text._ZN9rocsparseL22gebsrmvn_mxn_16_kernelILj88ELj11ELj8E21rocsparse_complex_numIfEEEvi20rocsparse_direction_NS_24const_host_device_scalarIT2_EEPKiS8_PKS5_iiSA_S6_PS5_21rocsparse_index_base_b,"axG",@progbits,_ZN9rocsparseL22gebsrmvn_mxn_16_kernelILj88ELj11ELj8E21rocsparse_complex_numIfEEEvi20rocsparse_direction_NS_24const_host_device_scalarIT2_EEPKiS8_PKS5_iiSA_S6_PS5_21rocsparse_index_base_b,comdat
	.globl	_ZN9rocsparseL22gebsrmvn_mxn_16_kernelILj88ELj11ELj8E21rocsparse_complex_numIfEEEvi20rocsparse_direction_NS_24const_host_device_scalarIT2_EEPKiS8_PKS5_iiSA_S6_PS5_21rocsparse_index_base_b ; -- Begin function _ZN9rocsparseL22gebsrmvn_mxn_16_kernelILj88ELj11ELj8E21rocsparse_complex_numIfEEEvi20rocsparse_direction_NS_24const_host_device_scalarIT2_EEPKiS8_PKS5_iiSA_S6_PS5_21rocsparse_index_base_b
	.p2align	8
	.type	_ZN9rocsparseL22gebsrmvn_mxn_16_kernelILj88ELj11ELj8E21rocsparse_complex_numIfEEEvi20rocsparse_direction_NS_24const_host_device_scalarIT2_EEPKiS8_PKS5_iiSA_S6_PS5_21rocsparse_index_base_b,@function
_ZN9rocsparseL22gebsrmvn_mxn_16_kernelILj88ELj11ELj8E21rocsparse_complex_numIfEEEvi20rocsparse_direction_NS_24const_host_device_scalarIT2_EEPKiS8_PKS5_iiSA_S6_PS5_21rocsparse_index_base_b: ; @_ZN9rocsparseL22gebsrmvn_mxn_16_kernelILj88ELj11ELj8E21rocsparse_complex_numIfEEEvi20rocsparse_direction_NS_24const_host_device_scalarIT2_EEPKiS8_PKS5_iiSA_S6_PS5_21rocsparse_index_base_b
; %bb.0:
	s_load_dwordx2 s[0:1], s[4:5], 0x8
	s_load_dwordx2 s[2:3], s[4:5], 0x38
	;; [unrolled: 1-line block ×3, first 2 shown]
	s_add_u32 s7, s4, 8
	s_addc_u32 s8, s5, 0
	s_add_u32 s9, s4, 56
	s_addc_u32 s12, s5, 0
	s_waitcnt lgkmcnt(0)
	s_bitcmp1_b32 s11, 0
	s_cselect_b32 s1, s8, s1
	s_cselect_b32 s0, s7, s0
	v_mov_b32_e32 v1, s0
	v_mov_b32_e32 v2, s1
	flat_load_dwordx2 v[3:4], v[1:2]
	s_cselect_b32 s0, s12, s3
	s_cselect_b32 s1, s9, s2
	v_mov_b32_e32 v1, s1
	v_mov_b32_e32 v2, s0
	flat_load_dwordx2 v[1:2], v[1:2]
	s_waitcnt vmcnt(0) lgkmcnt(0)
	v_cmp_eq_f32_e32 vcc, 0, v3
	v_cmp_eq_f32_e64 s[0:1], 0, v4
	s_and_b64 s[8:9], vcc, s[0:1]
	s_mov_b64 s[0:1], -1
	s_and_saveexec_b64 s[2:3], s[8:9]
; %bb.1:
	v_cmp_neq_f32_e32 vcc, 1.0, v1
	v_cmp_neq_f32_e64 s[0:1], 0, v2
	s_or_b64 s[0:1], vcc, s[0:1]
	s_orn2_b64 s[0:1], s[0:1], exec
; %bb.2:
	s_or_b64 exec, exec, s[2:3]
	s_and_saveexec_b64 s[2:3], s[0:1]
	s_cbranch_execz .LBB93_35
; %bb.3:
	s_load_dword s2, s[4:5], 0x4
	s_load_dwordx2 s[0:1], s[4:5], 0x10
	v_and_b32_e32 v11, 7, v0
	v_mov_b32_e32 v12, v11
	s_waitcnt lgkmcnt(0)
	s_cmp_lg_u32 s2, 1
	s_cselect_b64 s[12:13], -1, 0
	s_and_b64 vcc, exec, s[12:13]
	s_cbranch_vccnz .LBB93_5
; %bb.4:
	v_mul_u32_u24_e32 v5, 0x1746, v0
	v_bfe_u32 v12, v5, 16, 3
.LBB93_5:
	s_ashr_i32 s7, s6, 31
	s_lshl_b64 s[2:3], s[6:7], 2
	s_add_u32 s0, s0, s2
	s_addc_u32 s1, s1, s3
	s_load_dwordx2 s[16:17], s[0:1], 0x0
	s_load_dwordx2 s[8:9], s[4:5], 0x40
	v_mov_b32_e32 v6, 0
	v_mov_b32_e32 v5, 0
	s_waitcnt lgkmcnt(0)
	s_cmp_ge_i32 s16, s17
	s_cbranch_scc1 .LBB93_10
; %bb.6:
	s_load_dwordx4 s[0:3], s[4:5], 0x18
	s_load_dwordx2 s[14:15], s[4:5], 0x30
	s_mul_i32 s4, s16, 0x58
	v_add_u32_e32 v5, s4, v0
	s_mul_i32 s4, s10, 0x58
	v_mov_b32_e32 v8, 0
	s_sub_i32 s7, s17, s10
	s_sub_i32 s11, s16, s10
	v_mul_u32_u24_e32 v13, 0x2e9, v0
	v_subrev_u32_e32 v7, s4, v5
	v_mov_b32_e32 v6, v8
	v_mov_b32_e32 v5, v8
	s_branch .LBB93_8
.LBB93_7:                               ;   in Loop: Header=BB93_8 Depth=1
	s_or_b64 exec, exec, s[4:5]
	s_add_i32 s11, s11, 1
	s_cmp_ge_i32 s11, s7
	v_add_u32_e32 v7, 0x58, v7
	s_cbranch_scc1 .LBB93_10
.LBB93_8:                               ; =>This Inner Loop Header: Depth=1
	v_add_u32_sdwa v9, v13, s11 dst_sel:DWORD dst_unused:UNUSED_PAD src0_sel:WORD_1 src1_sel:DWORD
	v_cmp_gt_i32_e32 vcc, s7, v9
	s_and_saveexec_b64 s[4:5], vcc
	s_cbranch_execz .LBB93_7
; %bb.9:                                ;   in Loop: Header=BB93_8 Depth=1
	v_ashrrev_i32_e32 v10, 31, v9
	v_lshlrev_b64 v[9:10], 2, v[9:10]
	s_waitcnt lgkmcnt(0)
	v_mov_b32_e32 v14, s1
	v_add_co_u32_e32 v9, vcc, s0, v9
	v_addc_co_u32_e32 v10, vcc, v14, v10, vcc
	global_load_dword v14, v[9:10], off
	v_lshlrev_b64 v[9:10], 3, v[7:8]
	v_mov_b32_e32 v15, s3
	v_add_co_u32_e32 v9, vcc, s2, v9
	v_addc_co_u32_e32 v10, vcc, v15, v10, vcc
	v_mov_b32_e32 v16, s15
	global_load_dwordx2 v[9:10], v[9:10], off
	s_waitcnt vmcnt(1)
	v_subrev_u32_e32 v14, s10, v14
	v_lshl_or_b32 v14, v14, 3, v12
	v_ashrrev_i32_e32 v15, 31, v14
	v_lshlrev_b64 v[14:15], 3, v[14:15]
	v_add_co_u32_e32 v14, vcc, s14, v14
	v_addc_co_u32_e32 v15, vcc, v16, v15, vcc
	global_load_dwordx2 v[14:15], v[14:15], off
	s_waitcnt vmcnt(0)
	v_fmac_f32_e32 v5, v9, v14
	v_fmac_f32_e32 v6, v10, v14
	v_fma_f32 v5, -v10, v15, v5
	v_fmac_f32_e32 v6, v9, v15
	s_branch .LBB93_7
.LBB93_10:
	v_lshlrev_b32_e32 v9, 3, v0
	s_and_b64 vcc, exec, s[12:13]
	ds_write_b64 v9, v[5:6]
	s_waitcnt lgkmcnt(0)
	s_barrier
	s_cbranch_vccz .LBB93_20
; %bb.11:
	v_cmp_gt_u32_e32 vcc, 4, v11
	s_and_saveexec_b64 s[0:1], vcc
	s_cbranch_execz .LBB93_13
; %bb.12:
	ds_read2_b64 v[12:15], v9 offset1:4
	s_waitcnt lgkmcnt(0)
	v_add_f32_e32 v7, v14, v12
	v_add_f32_e32 v8, v15, v13
	ds_write_b64 v9, v[7:8]
.LBB93_13:
	s_or_b64 exec, exec, s[0:1]
	v_cmp_gt_u32_e32 vcc, 2, v11
	s_waitcnt lgkmcnt(0)
	s_barrier
	s_and_saveexec_b64 s[0:1], vcc
	s_cbranch_execz .LBB93_15
; %bb.14:
	ds_read2_b64 v[12:15], v9 offset1:2
	s_waitcnt lgkmcnt(0)
	v_add_f32_e32 v7, v14, v12
	v_add_f32_e32 v8, v15, v13
	ds_write_b64 v9, v[7:8]
.LBB93_15:
	s_or_b64 exec, exec, s[0:1]
	v_cmp_eq_u32_e32 vcc, 0, v11
	s_waitcnt lgkmcnt(0)
	s_barrier
	s_and_saveexec_b64 s[0:1], vcc
	s_cbranch_execz .LBB93_17
; %bb.16:
	ds_read2_b64 v[10:13], v9 offset1:1
	s_waitcnt lgkmcnt(0)
	v_add_f32_e32 v7, v12, v10
	v_add_f32_e32 v8, v13, v11
	ds_write_b64 v9, v[7:8]
.LBB93_17:
	s_or_b64 exec, exec, s[0:1]
	v_cmp_gt_u32_e32 vcc, 11, v0
	v_mov_b32_e32 v8, v6
	v_mov_b32_e32 v7, v5
	s_waitcnt lgkmcnt(0)
	s_barrier
	s_and_saveexec_b64 s[0:1], vcc
; %bb.18:
	v_mad_u32_u24 v7, v0, 56, v9
	ds_read_b64 v[7:8], v7
; %bb.19:
	s_or_b64 exec, exec, s[0:1]
	s_branch .LBB93_30
.LBB93_20:
                                        ; implicit-def: $vgpr8
	s_cbranch_execz .LBB93_30
; %bb.21:
	v_cmp_gt_u32_e32 vcc, 44, v0
	s_and_saveexec_b64 s[0:1], vcc
	s_cbranch_execz .LBB93_23
; %bb.22:
	ds_read2_b64 v[10:13], v9 offset1:44
	s_waitcnt lgkmcnt(0)
	v_add_f32_e32 v7, v12, v10
	v_add_f32_e32 v8, v13, v11
	ds_write_b64 v9, v[7:8]
.LBB93_23:
	s_or_b64 exec, exec, s[0:1]
	v_cmp_gt_u32_e32 vcc, 22, v0
	s_waitcnt lgkmcnt(0)
	s_barrier
	s_and_saveexec_b64 s[0:1], vcc
	s_cbranch_execz .LBB93_25
; %bb.24:
	ds_read2_b64 v[10:13], v9 offset1:22
	s_waitcnt lgkmcnt(0)
	v_add_f32_e32 v7, v12, v10
	v_add_f32_e32 v8, v13, v11
	ds_write_b64 v9, v[7:8]
.LBB93_25:
	s_or_b64 exec, exec, s[0:1]
	v_cmp_lt_u32_e32 vcc, 10, v0
	s_waitcnt lgkmcnt(0)
	s_and_saveexec_b64 s[0:1], vcc
	s_xor_b64 s[0:1], exec, s[0:1]
; %bb.26:
                                        ; implicit-def: $vgpr9
; %bb.27:
	s_andn2_saveexec_b64 s[0:1], s[0:1]
	s_cbranch_execz .LBB93_29
; %bb.28:
	ds_read2_b64 v[5:8], v9 offset1:11
	s_waitcnt lgkmcnt(0)
	v_add_f32_e32 v5, v7, v5
	v_add_f32_e32 v6, v8, v6
	ds_write_b64 v9, v[5:6]
	s_waitcnt lgkmcnt(0)
	ds_read_b64 v[5:6], v9
.LBB93_29:
	s_or_b64 exec, exec, s[0:1]
	s_waitcnt lgkmcnt(0)
	v_mov_b32_e32 v8, v6
	v_mov_b32_e32 v7, v5
.LBB93_30:
	v_cmp_gt_u32_e32 vcc, 11, v0
	s_and_b64 exec, exec, vcc
	s_cbranch_execz .LBB93_35
; %bb.31:
	v_cmp_eq_f32_e32 vcc, 0, v1
	v_cmp_eq_f32_e64 s[0:1], 0, v2
	s_waitcnt lgkmcnt(0)
	v_mul_f32_e64 v5, v8, -v4
	v_mul_f32_e32 v6, v3, v8
	s_and_b64 s[0:1], vcc, s[0:1]
	v_fmac_f32_e32 v5, v3, v7
	v_fmac_f32_e32 v6, v4, v7
	s_and_saveexec_b64 s[2:3], s[0:1]
	s_xor_b64 s[0:1], exec, s[2:3]
	s_cbranch_execz .LBB93_33
; %bb.32:
	v_mad_u64_u32 v[0:1], s[2:3], s6, 11, v[0:1]
	v_mov_b32_e32 v1, 0
	v_mov_b32_e32 v2, s9
	v_lshlrev_b64 v[0:1], 3, v[0:1]
	v_add_co_u32_e32 v0, vcc, s8, v0
	v_addc_co_u32_e32 v1, vcc, v2, v1, vcc
	global_store_dwordx2 v[0:1], v[5:6], off
                                        ; implicit-def: $vgpr0
                                        ; implicit-def: $vgpr1_vgpr2
                                        ; implicit-def: $vgpr5
.LBB93_33:
	s_andn2_saveexec_b64 s[0:1], s[0:1]
	s_cbranch_execz .LBB93_35
; %bb.34:
	v_mad_u64_u32 v[3:4], s[0:1], s6, 11, v[0:1]
	v_mov_b32_e32 v4, 0
	v_mov_b32_e32 v0, s9
	v_lshlrev_b64 v[3:4], 3, v[3:4]
	v_add_co_u32_e32 v3, vcc, s8, v3
	v_addc_co_u32_e32 v4, vcc, v0, v4, vcc
	global_load_dwordx2 v[7:8], v[3:4], off
	s_waitcnt vmcnt(0)
	v_fmac_f32_e32 v5, v1, v7
	v_fmac_f32_e32 v6, v2, v7
	v_fma_f32 v5, -v2, v8, v5
	v_fmac_f32_e32 v6, v1, v8
	global_store_dwordx2 v[3:4], v[5:6], off
.LBB93_35:
	s_endpgm
	.section	.rodata,"a",@progbits
	.p2align	6, 0x0
	.amdhsa_kernel _ZN9rocsparseL22gebsrmvn_mxn_16_kernelILj88ELj11ELj8E21rocsparse_complex_numIfEEEvi20rocsparse_direction_NS_24const_host_device_scalarIT2_EEPKiS8_PKS5_iiSA_S6_PS5_21rocsparse_index_base_b
		.amdhsa_group_segment_fixed_size 704
		.amdhsa_private_segment_fixed_size 0
		.amdhsa_kernarg_size 80
		.amdhsa_user_sgpr_count 6
		.amdhsa_user_sgpr_private_segment_buffer 1
		.amdhsa_user_sgpr_dispatch_ptr 0
		.amdhsa_user_sgpr_queue_ptr 0
		.amdhsa_user_sgpr_kernarg_segment_ptr 1
		.amdhsa_user_sgpr_dispatch_id 0
		.amdhsa_user_sgpr_flat_scratch_init 0
		.amdhsa_user_sgpr_private_segment_size 0
		.amdhsa_uses_dynamic_stack 0
		.amdhsa_system_sgpr_private_segment_wavefront_offset 0
		.amdhsa_system_sgpr_workgroup_id_x 1
		.amdhsa_system_sgpr_workgroup_id_y 0
		.amdhsa_system_sgpr_workgroup_id_z 0
		.amdhsa_system_sgpr_workgroup_info 0
		.amdhsa_system_vgpr_workitem_id 0
		.amdhsa_next_free_vgpr 17
		.amdhsa_next_free_sgpr 18
		.amdhsa_reserve_vcc 1
		.amdhsa_reserve_flat_scratch 0
		.amdhsa_float_round_mode_32 0
		.amdhsa_float_round_mode_16_64 0
		.amdhsa_float_denorm_mode_32 3
		.amdhsa_float_denorm_mode_16_64 3
		.amdhsa_dx10_clamp 1
		.amdhsa_ieee_mode 1
		.amdhsa_fp16_overflow 0
		.amdhsa_exception_fp_ieee_invalid_op 0
		.amdhsa_exception_fp_denorm_src 0
		.amdhsa_exception_fp_ieee_div_zero 0
		.amdhsa_exception_fp_ieee_overflow 0
		.amdhsa_exception_fp_ieee_underflow 0
		.amdhsa_exception_fp_ieee_inexact 0
		.amdhsa_exception_int_div_zero 0
	.end_amdhsa_kernel
	.section	.text._ZN9rocsparseL22gebsrmvn_mxn_16_kernelILj88ELj11ELj8E21rocsparse_complex_numIfEEEvi20rocsparse_direction_NS_24const_host_device_scalarIT2_EEPKiS8_PKS5_iiSA_S6_PS5_21rocsparse_index_base_b,"axG",@progbits,_ZN9rocsparseL22gebsrmvn_mxn_16_kernelILj88ELj11ELj8E21rocsparse_complex_numIfEEEvi20rocsparse_direction_NS_24const_host_device_scalarIT2_EEPKiS8_PKS5_iiSA_S6_PS5_21rocsparse_index_base_b,comdat
.Lfunc_end93:
	.size	_ZN9rocsparseL22gebsrmvn_mxn_16_kernelILj88ELj11ELj8E21rocsparse_complex_numIfEEEvi20rocsparse_direction_NS_24const_host_device_scalarIT2_EEPKiS8_PKS5_iiSA_S6_PS5_21rocsparse_index_base_b, .Lfunc_end93-_ZN9rocsparseL22gebsrmvn_mxn_16_kernelILj88ELj11ELj8E21rocsparse_complex_numIfEEEvi20rocsparse_direction_NS_24const_host_device_scalarIT2_EEPKiS8_PKS5_iiSA_S6_PS5_21rocsparse_index_base_b
                                        ; -- End function
	.set _ZN9rocsparseL22gebsrmvn_mxn_16_kernelILj88ELj11ELj8E21rocsparse_complex_numIfEEEvi20rocsparse_direction_NS_24const_host_device_scalarIT2_EEPKiS8_PKS5_iiSA_S6_PS5_21rocsparse_index_base_b.num_vgpr, 17
	.set _ZN9rocsparseL22gebsrmvn_mxn_16_kernelILj88ELj11ELj8E21rocsparse_complex_numIfEEEvi20rocsparse_direction_NS_24const_host_device_scalarIT2_EEPKiS8_PKS5_iiSA_S6_PS5_21rocsparse_index_base_b.num_agpr, 0
	.set _ZN9rocsparseL22gebsrmvn_mxn_16_kernelILj88ELj11ELj8E21rocsparse_complex_numIfEEEvi20rocsparse_direction_NS_24const_host_device_scalarIT2_EEPKiS8_PKS5_iiSA_S6_PS5_21rocsparse_index_base_b.numbered_sgpr, 18
	.set _ZN9rocsparseL22gebsrmvn_mxn_16_kernelILj88ELj11ELj8E21rocsparse_complex_numIfEEEvi20rocsparse_direction_NS_24const_host_device_scalarIT2_EEPKiS8_PKS5_iiSA_S6_PS5_21rocsparse_index_base_b.num_named_barrier, 0
	.set _ZN9rocsparseL22gebsrmvn_mxn_16_kernelILj88ELj11ELj8E21rocsparse_complex_numIfEEEvi20rocsparse_direction_NS_24const_host_device_scalarIT2_EEPKiS8_PKS5_iiSA_S6_PS5_21rocsparse_index_base_b.private_seg_size, 0
	.set _ZN9rocsparseL22gebsrmvn_mxn_16_kernelILj88ELj11ELj8E21rocsparse_complex_numIfEEEvi20rocsparse_direction_NS_24const_host_device_scalarIT2_EEPKiS8_PKS5_iiSA_S6_PS5_21rocsparse_index_base_b.uses_vcc, 1
	.set _ZN9rocsparseL22gebsrmvn_mxn_16_kernelILj88ELj11ELj8E21rocsparse_complex_numIfEEEvi20rocsparse_direction_NS_24const_host_device_scalarIT2_EEPKiS8_PKS5_iiSA_S6_PS5_21rocsparse_index_base_b.uses_flat_scratch, 0
	.set _ZN9rocsparseL22gebsrmvn_mxn_16_kernelILj88ELj11ELj8E21rocsparse_complex_numIfEEEvi20rocsparse_direction_NS_24const_host_device_scalarIT2_EEPKiS8_PKS5_iiSA_S6_PS5_21rocsparse_index_base_b.has_dyn_sized_stack, 0
	.set _ZN9rocsparseL22gebsrmvn_mxn_16_kernelILj88ELj11ELj8E21rocsparse_complex_numIfEEEvi20rocsparse_direction_NS_24const_host_device_scalarIT2_EEPKiS8_PKS5_iiSA_S6_PS5_21rocsparse_index_base_b.has_recursion, 0
	.set _ZN9rocsparseL22gebsrmvn_mxn_16_kernelILj88ELj11ELj8E21rocsparse_complex_numIfEEEvi20rocsparse_direction_NS_24const_host_device_scalarIT2_EEPKiS8_PKS5_iiSA_S6_PS5_21rocsparse_index_base_b.has_indirect_call, 0
	.section	.AMDGPU.csdata,"",@progbits
; Kernel info:
; codeLenInByte = 1116
; TotalNumSgprs: 22
; NumVgprs: 17
; ScratchSize: 0
; MemoryBound: 0
; FloatMode: 240
; IeeeMode: 1
; LDSByteSize: 704 bytes/workgroup (compile time only)
; SGPRBlocks: 2
; VGPRBlocks: 4
; NumSGPRsForWavesPerEU: 22
; NumVGPRsForWavesPerEU: 17
; Occupancy: 10
; WaveLimiterHint : 1
; COMPUTE_PGM_RSRC2:SCRATCH_EN: 0
; COMPUTE_PGM_RSRC2:USER_SGPR: 6
; COMPUTE_PGM_RSRC2:TRAP_HANDLER: 0
; COMPUTE_PGM_RSRC2:TGID_X_EN: 1
; COMPUTE_PGM_RSRC2:TGID_Y_EN: 0
; COMPUTE_PGM_RSRC2:TGID_Z_EN: 0
; COMPUTE_PGM_RSRC2:TIDIG_COMP_CNT: 0
	.section	.text._ZN9rocsparseL22gebsrmvn_mxn_16_kernelILj60ELj12ELj1E21rocsparse_complex_numIfEEEvi20rocsparse_direction_NS_24const_host_device_scalarIT2_EEPKiS8_PKS5_iiSA_S6_PS5_21rocsparse_index_base_b,"axG",@progbits,_ZN9rocsparseL22gebsrmvn_mxn_16_kernelILj60ELj12ELj1E21rocsparse_complex_numIfEEEvi20rocsparse_direction_NS_24const_host_device_scalarIT2_EEPKiS8_PKS5_iiSA_S6_PS5_21rocsparse_index_base_b,comdat
	.globl	_ZN9rocsparseL22gebsrmvn_mxn_16_kernelILj60ELj12ELj1E21rocsparse_complex_numIfEEEvi20rocsparse_direction_NS_24const_host_device_scalarIT2_EEPKiS8_PKS5_iiSA_S6_PS5_21rocsparse_index_base_b ; -- Begin function _ZN9rocsparseL22gebsrmvn_mxn_16_kernelILj60ELj12ELj1E21rocsparse_complex_numIfEEEvi20rocsparse_direction_NS_24const_host_device_scalarIT2_EEPKiS8_PKS5_iiSA_S6_PS5_21rocsparse_index_base_b
	.p2align	8
	.type	_ZN9rocsparseL22gebsrmvn_mxn_16_kernelILj60ELj12ELj1E21rocsparse_complex_numIfEEEvi20rocsparse_direction_NS_24const_host_device_scalarIT2_EEPKiS8_PKS5_iiSA_S6_PS5_21rocsparse_index_base_b,@function
_ZN9rocsparseL22gebsrmvn_mxn_16_kernelILj60ELj12ELj1E21rocsparse_complex_numIfEEEvi20rocsparse_direction_NS_24const_host_device_scalarIT2_EEPKiS8_PKS5_iiSA_S6_PS5_21rocsparse_index_base_b: ; @_ZN9rocsparseL22gebsrmvn_mxn_16_kernelILj60ELj12ELj1E21rocsparse_complex_numIfEEEvi20rocsparse_direction_NS_24const_host_device_scalarIT2_EEPKiS8_PKS5_iiSA_S6_PS5_21rocsparse_index_base_b
; %bb.0:
	s_load_dwordx2 s[0:1], s[4:5], 0x8
	s_load_dwordx2 s[2:3], s[4:5], 0x38
	;; [unrolled: 1-line block ×3, first 2 shown]
	s_add_u32 s7, s4, 8
	s_addc_u32 s8, s5, 0
	s_add_u32 s9, s4, 56
	s_addc_u32 s12, s5, 0
	s_waitcnt lgkmcnt(0)
	s_bitcmp1_b32 s11, 0
	s_cselect_b32 s1, s8, s1
	s_cselect_b32 s0, s7, s0
	v_mov_b32_e32 v1, s0
	v_mov_b32_e32 v2, s1
	flat_load_dwordx2 v[3:4], v[1:2]
	s_cselect_b32 s0, s12, s3
	s_cselect_b32 s1, s9, s2
	v_mov_b32_e32 v1, s1
	v_mov_b32_e32 v2, s0
	flat_load_dwordx2 v[1:2], v[1:2]
	s_waitcnt vmcnt(0) lgkmcnt(0)
	v_cmp_eq_f32_e32 vcc, 0, v3
	v_cmp_eq_f32_e64 s[0:1], 0, v4
	s_and_b64 s[8:9], vcc, s[0:1]
	s_mov_b64 s[0:1], -1
	s_and_saveexec_b64 s[2:3], s[8:9]
; %bb.1:
	v_cmp_neq_f32_e32 vcc, 1.0, v1
	v_cmp_neq_f32_e64 s[0:1], 0, v2
	s_or_b64 s[0:1], vcc, s[0:1]
	s_orn2_b64 s[0:1], s[0:1], exec
; %bb.2:
	s_or_b64 exec, exec, s[2:3]
	s_and_saveexec_b64 s[2:3], s[0:1]
	s_cbranch_execz .LBB94_22
; %bb.3:
	s_load_dwordx2 s[0:1], s[4:5], 0x10
	s_ashr_i32 s7, s6, 31
	s_lshl_b64 s[2:3], s[6:7], 2
	s_waitcnt lgkmcnt(0)
	s_add_u32 s0, s0, s2
	s_addc_u32 s1, s1, s3
	s_load_dwordx2 s[14:15], s[0:1], 0x0
	s_waitcnt lgkmcnt(0)
	s_cmp_lt_i32 s14, s15
	s_cbranch_scc1 .LBB94_5
; %bb.4:
	s_mov_b64 s[0:1], 0
	s_branch .LBB94_6
.LBB94_5:
	s_mov_b64 s[0:1], -1
.LBB94_6:
	s_load_dwordx2 s[8:9], s[4:5], 0x40
	v_mov_b32_e32 v6, 0
	s_andn2_b64 vcc, exec, s[0:1]
	v_mov_b32_e32 v5, 0
	s_cbranch_vccnz .LBB94_11
; %bb.7:
	s_load_dwordx4 s[0:3], s[4:5], 0x18
	s_load_dwordx2 s[12:13], s[4:5], 0x30
	v_mad_u64_u32 v[5:6], s[4:5], s14, 12, v[0:1]
	s_mul_i32 s4, s10, 12
	v_mov_b32_e32 v8, 0
	s_sub_i32 s7, s15, s10
	s_sub_i32 s11, s14, s10
	v_mul_u32_u24_e32 v11, 0x1556, v0
	v_subrev_u32_e32 v7, s4, v5
	v_mov_b32_e32 v6, v8
	v_mov_b32_e32 v5, v8
	s_branch .LBB94_9
.LBB94_8:                               ;   in Loop: Header=BB94_9 Depth=1
	s_or_b64 exec, exec, s[4:5]
	s_add_i32 s11, s11, 5
	s_cmp_ge_i32 s11, s7
	v_add_u32_e32 v7, 60, v7
	s_cbranch_scc1 .LBB94_11
.LBB94_9:                               ; =>This Inner Loop Header: Depth=1
	v_add_u32_sdwa v9, v11, s11 dst_sel:DWORD dst_unused:UNUSED_PAD src0_sel:WORD_1 src1_sel:DWORD
	v_cmp_gt_i32_e32 vcc, s7, v9
	s_and_saveexec_b64 s[4:5], vcc
	s_cbranch_execz .LBB94_8
; %bb.10:                               ;   in Loop: Header=BB94_9 Depth=1
	v_ashrrev_i32_e32 v10, 31, v9
	v_lshlrev_b64 v[9:10], 2, v[9:10]
	s_waitcnt lgkmcnt(0)
	v_mov_b32_e32 v12, s1
	v_add_co_u32_e32 v9, vcc, s0, v9
	v_addc_co_u32_e32 v10, vcc, v12, v10, vcc
	global_load_dword v12, v[9:10], off
	v_lshlrev_b64 v[9:10], 3, v[7:8]
	v_mov_b32_e32 v13, s3
	v_add_co_u32_e32 v9, vcc, s2, v9
	v_addc_co_u32_e32 v10, vcc, v13, v10, vcc
	v_mov_b32_e32 v14, s13
	global_load_dwordx2 v[9:10], v[9:10], off
	s_waitcnt vmcnt(1)
	v_subrev_u32_e32 v12, s10, v12
	v_ashrrev_i32_e32 v13, 31, v12
	v_lshlrev_b64 v[12:13], 3, v[12:13]
	v_add_co_u32_e32 v12, vcc, s12, v12
	v_addc_co_u32_e32 v13, vcc, v14, v13, vcc
	global_load_dwordx2 v[12:13], v[12:13], off
	s_waitcnt vmcnt(0)
	v_fmac_f32_e32 v5, v9, v12
	v_fmac_f32_e32 v6, v10, v12
	v_fma_f32 v5, -v10, v13, v5
	v_fmac_f32_e32 v6, v9, v13
	s_branch .LBB94_8
.LBB94_11:
	v_lshlrev_b32_e32 v7, 3, v0
	v_cmp_gt_u32_e32 vcc, 12, v0
	ds_write_b64 v7, v[5:6]
	s_waitcnt lgkmcnt(0)
	; wave barrier
	s_and_saveexec_b64 s[0:1], vcc
	s_cbranch_execz .LBB94_13
; %bb.12:
	ds_read2_b64 v[8:11], v7 offset1:48
	s_waitcnt lgkmcnt(0)
	v_add_f32_e32 v5, v10, v8
	v_add_f32_e32 v6, v11, v9
	ds_write_b64 v7, v[5:6]
.LBB94_13:
	s_or_b64 exec, exec, s[0:1]
	v_cmp_gt_u32_e64 s[0:1], 24, v0
	s_waitcnt lgkmcnt(0)
	; wave barrier
	s_and_saveexec_b64 s[2:3], s[0:1]
	s_cbranch_execz .LBB94_15
; %bb.14:
	ds_read2_b64 v[8:11], v7 offset1:24
	s_waitcnt lgkmcnt(0)
	v_add_f32_e32 v5, v10, v8
	v_add_f32_e32 v6, v11, v9
	ds_write_b64 v7, v[5:6]
.LBB94_15:
	s_or_b64 exec, exec, s[2:3]
	s_waitcnt lgkmcnt(0)
	; wave barrier
	s_and_saveexec_b64 s[0:1], vcc
	s_cbranch_execz .LBB94_17
; %bb.16:
	ds_read2_b64 v[8:11], v7 offset1:12
	s_waitcnt lgkmcnt(0)
	v_add_f32_e32 v5, v10, v8
	v_add_f32_e32 v6, v11, v9
	ds_write_b64 v7, v[5:6]
.LBB94_17:
	s_or_b64 exec, exec, s[0:1]
	s_waitcnt lgkmcnt(0)
	; wave barrier
	s_and_b64 exec, exec, vcc
	s_cbranch_execz .LBB94_22
; %bb.18:
	ds_read_b64 v[7:8], v7
	v_cmp_eq_f32_e32 vcc, 0, v1
	v_cmp_eq_f32_e64 s[0:1], 0, v2
	s_and_b64 s[0:1], vcc, s[0:1]
	s_waitcnt lgkmcnt(0)
	v_mul_f32_e64 v5, v8, -v4
	v_mul_f32_e32 v6, v3, v8
	v_fmac_f32_e32 v5, v3, v7
	v_fmac_f32_e32 v6, v4, v7
	s_and_saveexec_b64 s[2:3], s[0:1]
	s_xor_b64 s[0:1], exec, s[2:3]
	s_cbranch_execz .LBB94_20
; %bb.19:
	v_mad_u64_u32 v[0:1], s[2:3], s6, 12, v[0:1]
	v_mov_b32_e32 v1, 0
	v_mov_b32_e32 v2, s9
	v_lshlrev_b64 v[0:1], 3, v[0:1]
	v_add_co_u32_e32 v0, vcc, s8, v0
	v_addc_co_u32_e32 v1, vcc, v2, v1, vcc
	global_store_dwordx2 v[0:1], v[5:6], off
                                        ; implicit-def: $vgpr0
                                        ; implicit-def: $vgpr1_vgpr2
                                        ; implicit-def: $vgpr5
.LBB94_20:
	s_andn2_saveexec_b64 s[0:1], s[0:1]
	s_cbranch_execz .LBB94_22
; %bb.21:
	v_mad_u64_u32 v[3:4], s[0:1], s6, 12, v[0:1]
	v_mov_b32_e32 v4, 0
	v_mov_b32_e32 v0, s9
	v_lshlrev_b64 v[3:4], 3, v[3:4]
	v_add_co_u32_e32 v3, vcc, s8, v3
	v_addc_co_u32_e32 v4, vcc, v0, v4, vcc
	global_load_dwordx2 v[7:8], v[3:4], off
	s_waitcnt vmcnt(0)
	v_fmac_f32_e32 v5, v1, v7
	v_fmac_f32_e32 v6, v2, v7
	v_fma_f32 v5, -v2, v8, v5
	v_fmac_f32_e32 v6, v1, v8
	global_store_dwordx2 v[3:4], v[5:6], off
.LBB94_22:
	s_endpgm
	.section	.rodata,"a",@progbits
	.p2align	6, 0x0
	.amdhsa_kernel _ZN9rocsparseL22gebsrmvn_mxn_16_kernelILj60ELj12ELj1E21rocsparse_complex_numIfEEEvi20rocsparse_direction_NS_24const_host_device_scalarIT2_EEPKiS8_PKS5_iiSA_S6_PS5_21rocsparse_index_base_b
		.amdhsa_group_segment_fixed_size 480
		.amdhsa_private_segment_fixed_size 0
		.amdhsa_kernarg_size 80
		.amdhsa_user_sgpr_count 6
		.amdhsa_user_sgpr_private_segment_buffer 1
		.amdhsa_user_sgpr_dispatch_ptr 0
		.amdhsa_user_sgpr_queue_ptr 0
		.amdhsa_user_sgpr_kernarg_segment_ptr 1
		.amdhsa_user_sgpr_dispatch_id 0
		.amdhsa_user_sgpr_flat_scratch_init 0
		.amdhsa_user_sgpr_private_segment_size 0
		.amdhsa_uses_dynamic_stack 0
		.amdhsa_system_sgpr_private_segment_wavefront_offset 0
		.amdhsa_system_sgpr_workgroup_id_x 1
		.amdhsa_system_sgpr_workgroup_id_y 0
		.amdhsa_system_sgpr_workgroup_id_z 0
		.amdhsa_system_sgpr_workgroup_info 0
		.amdhsa_system_vgpr_workitem_id 0
		.amdhsa_next_free_vgpr 15
		.amdhsa_next_free_sgpr 16
		.amdhsa_reserve_vcc 1
		.amdhsa_reserve_flat_scratch 0
		.amdhsa_float_round_mode_32 0
		.amdhsa_float_round_mode_16_64 0
		.amdhsa_float_denorm_mode_32 3
		.amdhsa_float_denorm_mode_16_64 3
		.amdhsa_dx10_clamp 1
		.amdhsa_ieee_mode 1
		.amdhsa_fp16_overflow 0
		.amdhsa_exception_fp_ieee_invalid_op 0
		.amdhsa_exception_fp_denorm_src 0
		.amdhsa_exception_fp_ieee_div_zero 0
		.amdhsa_exception_fp_ieee_overflow 0
		.amdhsa_exception_fp_ieee_underflow 0
		.amdhsa_exception_fp_ieee_inexact 0
		.amdhsa_exception_int_div_zero 0
	.end_amdhsa_kernel
	.section	.text._ZN9rocsparseL22gebsrmvn_mxn_16_kernelILj60ELj12ELj1E21rocsparse_complex_numIfEEEvi20rocsparse_direction_NS_24const_host_device_scalarIT2_EEPKiS8_PKS5_iiSA_S6_PS5_21rocsparse_index_base_b,"axG",@progbits,_ZN9rocsparseL22gebsrmvn_mxn_16_kernelILj60ELj12ELj1E21rocsparse_complex_numIfEEEvi20rocsparse_direction_NS_24const_host_device_scalarIT2_EEPKiS8_PKS5_iiSA_S6_PS5_21rocsparse_index_base_b,comdat
.Lfunc_end94:
	.size	_ZN9rocsparseL22gebsrmvn_mxn_16_kernelILj60ELj12ELj1E21rocsparse_complex_numIfEEEvi20rocsparse_direction_NS_24const_host_device_scalarIT2_EEPKiS8_PKS5_iiSA_S6_PS5_21rocsparse_index_base_b, .Lfunc_end94-_ZN9rocsparseL22gebsrmvn_mxn_16_kernelILj60ELj12ELj1E21rocsparse_complex_numIfEEEvi20rocsparse_direction_NS_24const_host_device_scalarIT2_EEPKiS8_PKS5_iiSA_S6_PS5_21rocsparse_index_base_b
                                        ; -- End function
	.set _ZN9rocsparseL22gebsrmvn_mxn_16_kernelILj60ELj12ELj1E21rocsparse_complex_numIfEEEvi20rocsparse_direction_NS_24const_host_device_scalarIT2_EEPKiS8_PKS5_iiSA_S6_PS5_21rocsparse_index_base_b.num_vgpr, 15
	.set _ZN9rocsparseL22gebsrmvn_mxn_16_kernelILj60ELj12ELj1E21rocsparse_complex_numIfEEEvi20rocsparse_direction_NS_24const_host_device_scalarIT2_EEPKiS8_PKS5_iiSA_S6_PS5_21rocsparse_index_base_b.num_agpr, 0
	.set _ZN9rocsparseL22gebsrmvn_mxn_16_kernelILj60ELj12ELj1E21rocsparse_complex_numIfEEEvi20rocsparse_direction_NS_24const_host_device_scalarIT2_EEPKiS8_PKS5_iiSA_S6_PS5_21rocsparse_index_base_b.numbered_sgpr, 16
	.set _ZN9rocsparseL22gebsrmvn_mxn_16_kernelILj60ELj12ELj1E21rocsparse_complex_numIfEEEvi20rocsparse_direction_NS_24const_host_device_scalarIT2_EEPKiS8_PKS5_iiSA_S6_PS5_21rocsparse_index_base_b.num_named_barrier, 0
	.set _ZN9rocsparseL22gebsrmvn_mxn_16_kernelILj60ELj12ELj1E21rocsparse_complex_numIfEEEvi20rocsparse_direction_NS_24const_host_device_scalarIT2_EEPKiS8_PKS5_iiSA_S6_PS5_21rocsparse_index_base_b.private_seg_size, 0
	.set _ZN9rocsparseL22gebsrmvn_mxn_16_kernelILj60ELj12ELj1E21rocsparse_complex_numIfEEEvi20rocsparse_direction_NS_24const_host_device_scalarIT2_EEPKiS8_PKS5_iiSA_S6_PS5_21rocsparse_index_base_b.uses_vcc, 1
	.set _ZN9rocsparseL22gebsrmvn_mxn_16_kernelILj60ELj12ELj1E21rocsparse_complex_numIfEEEvi20rocsparse_direction_NS_24const_host_device_scalarIT2_EEPKiS8_PKS5_iiSA_S6_PS5_21rocsparse_index_base_b.uses_flat_scratch, 0
	.set _ZN9rocsparseL22gebsrmvn_mxn_16_kernelILj60ELj12ELj1E21rocsparse_complex_numIfEEEvi20rocsparse_direction_NS_24const_host_device_scalarIT2_EEPKiS8_PKS5_iiSA_S6_PS5_21rocsparse_index_base_b.has_dyn_sized_stack, 0
	.set _ZN9rocsparseL22gebsrmvn_mxn_16_kernelILj60ELj12ELj1E21rocsparse_complex_numIfEEEvi20rocsparse_direction_NS_24const_host_device_scalarIT2_EEPKiS8_PKS5_iiSA_S6_PS5_21rocsparse_index_base_b.has_recursion, 0
	.set _ZN9rocsparseL22gebsrmvn_mxn_16_kernelILj60ELj12ELj1E21rocsparse_complex_numIfEEEvi20rocsparse_direction_NS_24const_host_device_scalarIT2_EEPKiS8_PKS5_iiSA_S6_PS5_21rocsparse_index_base_b.has_indirect_call, 0
	.section	.AMDGPU.csdata,"",@progbits
; Kernel info:
; codeLenInByte = 828
; TotalNumSgprs: 20
; NumVgprs: 15
; ScratchSize: 0
; MemoryBound: 0
; FloatMode: 240
; IeeeMode: 1
; LDSByteSize: 480 bytes/workgroup (compile time only)
; SGPRBlocks: 2
; VGPRBlocks: 3
; NumSGPRsForWavesPerEU: 20
; NumVGPRsForWavesPerEU: 15
; Occupancy: 10
; WaveLimiterHint : 1
; COMPUTE_PGM_RSRC2:SCRATCH_EN: 0
; COMPUTE_PGM_RSRC2:USER_SGPR: 6
; COMPUTE_PGM_RSRC2:TRAP_HANDLER: 0
; COMPUTE_PGM_RSRC2:TGID_X_EN: 1
; COMPUTE_PGM_RSRC2:TGID_Y_EN: 0
; COMPUTE_PGM_RSRC2:TGID_Z_EN: 0
; COMPUTE_PGM_RSRC2:TIDIG_COMP_CNT: 0
	.section	.text._ZN9rocsparseL22gebsrmvn_mxn_16_kernelILj48ELj12ELj2E21rocsparse_complex_numIfEEEvi20rocsparse_direction_NS_24const_host_device_scalarIT2_EEPKiS8_PKS5_iiSA_S6_PS5_21rocsparse_index_base_b,"axG",@progbits,_ZN9rocsparseL22gebsrmvn_mxn_16_kernelILj48ELj12ELj2E21rocsparse_complex_numIfEEEvi20rocsparse_direction_NS_24const_host_device_scalarIT2_EEPKiS8_PKS5_iiSA_S6_PS5_21rocsparse_index_base_b,comdat
	.globl	_ZN9rocsparseL22gebsrmvn_mxn_16_kernelILj48ELj12ELj2E21rocsparse_complex_numIfEEEvi20rocsparse_direction_NS_24const_host_device_scalarIT2_EEPKiS8_PKS5_iiSA_S6_PS5_21rocsparse_index_base_b ; -- Begin function _ZN9rocsparseL22gebsrmvn_mxn_16_kernelILj48ELj12ELj2E21rocsparse_complex_numIfEEEvi20rocsparse_direction_NS_24const_host_device_scalarIT2_EEPKiS8_PKS5_iiSA_S6_PS5_21rocsparse_index_base_b
	.p2align	8
	.type	_ZN9rocsparseL22gebsrmvn_mxn_16_kernelILj48ELj12ELj2E21rocsparse_complex_numIfEEEvi20rocsparse_direction_NS_24const_host_device_scalarIT2_EEPKiS8_PKS5_iiSA_S6_PS5_21rocsparse_index_base_b,@function
_ZN9rocsparseL22gebsrmvn_mxn_16_kernelILj48ELj12ELj2E21rocsparse_complex_numIfEEEvi20rocsparse_direction_NS_24const_host_device_scalarIT2_EEPKiS8_PKS5_iiSA_S6_PS5_21rocsparse_index_base_b: ; @_ZN9rocsparseL22gebsrmvn_mxn_16_kernelILj48ELj12ELj2E21rocsparse_complex_numIfEEEvi20rocsparse_direction_NS_24const_host_device_scalarIT2_EEPKiS8_PKS5_iiSA_S6_PS5_21rocsparse_index_base_b
; %bb.0:
	s_load_dwordx2 s[0:1], s[4:5], 0x8
	s_load_dwordx2 s[2:3], s[4:5], 0x38
	;; [unrolled: 1-line block ×3, first 2 shown]
	s_add_u32 s7, s4, 8
	s_addc_u32 s8, s5, 0
	s_add_u32 s9, s4, 56
	s_addc_u32 s12, s5, 0
	s_waitcnt lgkmcnt(0)
	s_bitcmp1_b32 s11, 0
	s_cselect_b32 s1, s8, s1
	s_cselect_b32 s0, s7, s0
	v_mov_b32_e32 v1, s0
	v_mov_b32_e32 v2, s1
	flat_load_dwordx2 v[3:4], v[1:2]
	s_cselect_b32 s0, s12, s3
	s_cselect_b32 s1, s9, s2
	v_mov_b32_e32 v1, s1
	v_mov_b32_e32 v2, s0
	flat_load_dwordx2 v[1:2], v[1:2]
	s_waitcnt vmcnt(0) lgkmcnt(0)
	v_cmp_eq_f32_e32 vcc, 0, v3
	v_cmp_eq_f32_e64 s[0:1], 0, v4
	s_and_b64 s[8:9], vcc, s[0:1]
	s_mov_b64 s[0:1], -1
	s_and_saveexec_b64 s[2:3], s[8:9]
; %bb.1:
	v_cmp_neq_f32_e32 vcc, 1.0, v1
	v_cmp_neq_f32_e64 s[0:1], 0, v2
	s_or_b64 s[0:1], vcc, s[0:1]
	s_orn2_b64 s[0:1], s[0:1], exec
; %bb.2:
	s_or_b64 exec, exec, s[2:3]
	s_and_saveexec_b64 s[2:3], s[0:1]
	s_cbranch_execz .LBB95_29
; %bb.3:
	s_load_dword s2, s[4:5], 0x4
	s_load_dwordx2 s[0:1], s[4:5], 0x10
	v_and_b32_e32 v11, 1, v0
	v_mov_b32_e32 v12, v11
	s_waitcnt lgkmcnt(0)
	s_cmp_lg_u32 s2, 1
	s_cselect_b64 s[12:13], -1, 0
	s_and_b64 vcc, exec, s[12:13]
	s_cbranch_vccnz .LBB95_5
; %bb.4:
	v_mul_u32_u24_e32 v5, 0x1556, v0
	v_bfe_u32 v12, v5, 16, 1
.LBB95_5:
	s_ashr_i32 s7, s6, 31
	s_lshl_b64 s[2:3], s[6:7], 2
	s_add_u32 s0, s0, s2
	s_addc_u32 s1, s1, s3
	s_load_dwordx2 s[16:17], s[0:1], 0x0
	s_load_dwordx2 s[8:9], s[4:5], 0x40
	v_mov_b32_e32 v6, 0
	v_mov_b32_e32 v5, 0
	s_waitcnt lgkmcnt(0)
	s_cmp_ge_i32 s16, s17
	s_cbranch_scc1 .LBB95_10
; %bb.6:
	s_load_dwordx4 s[0:3], s[4:5], 0x18
	s_load_dwordx2 s[14:15], s[4:5], 0x30
	v_mad_u64_u32 v[5:6], s[4:5], s16, 24, v[0:1]
	s_mul_i32 s4, s10, 24
	v_mov_b32_e32 v8, 0
	s_sub_i32 s7, s17, s10
	s_sub_i32 s11, s16, s10
	v_mul_u32_u24_e32 v13, 0xaab, v0
	v_subrev_u32_e32 v7, s4, v5
	v_mov_b32_e32 v6, v8
	v_mov_b32_e32 v5, v8
	s_branch .LBB95_8
.LBB95_7:                               ;   in Loop: Header=BB95_8 Depth=1
	s_or_b64 exec, exec, s[4:5]
	s_add_i32 s11, s11, 2
	s_cmp_ge_i32 s11, s7
	v_add_u32_e32 v7, 48, v7
	s_cbranch_scc1 .LBB95_10
.LBB95_8:                               ; =>This Inner Loop Header: Depth=1
	v_add_u32_sdwa v9, v13, s11 dst_sel:DWORD dst_unused:UNUSED_PAD src0_sel:WORD_1 src1_sel:DWORD
	v_cmp_gt_i32_e32 vcc, s7, v9
	s_and_saveexec_b64 s[4:5], vcc
	s_cbranch_execz .LBB95_7
; %bb.9:                                ;   in Loop: Header=BB95_8 Depth=1
	v_ashrrev_i32_e32 v10, 31, v9
	v_lshlrev_b64 v[9:10], 2, v[9:10]
	s_waitcnt lgkmcnt(0)
	v_mov_b32_e32 v14, s1
	v_add_co_u32_e32 v9, vcc, s0, v9
	v_addc_co_u32_e32 v10, vcc, v14, v10, vcc
	global_load_dword v14, v[9:10], off
	v_lshlrev_b64 v[9:10], 3, v[7:8]
	v_mov_b32_e32 v15, s3
	v_add_co_u32_e32 v9, vcc, s2, v9
	v_addc_co_u32_e32 v10, vcc, v15, v10, vcc
	v_mov_b32_e32 v16, s15
	global_load_dwordx2 v[9:10], v[9:10], off
	s_waitcnt vmcnt(1)
	v_subrev_u32_e32 v14, s10, v14
	v_lshl_or_b32 v14, v14, 1, v12
	v_ashrrev_i32_e32 v15, 31, v14
	v_lshlrev_b64 v[14:15], 3, v[14:15]
	v_add_co_u32_e32 v14, vcc, s14, v14
	v_addc_co_u32_e32 v15, vcc, v16, v15, vcc
	global_load_dwordx2 v[14:15], v[14:15], off
	s_waitcnt vmcnt(0)
	v_fmac_f32_e32 v5, v9, v14
	v_fmac_f32_e32 v6, v10, v14
	v_fma_f32 v5, -v10, v15, v5
	v_fmac_f32_e32 v6, v9, v15
	s_branch .LBB95_7
.LBB95_10:
	v_lshlrev_b32_e32 v9, 3, v0
	v_cmp_gt_u32_e32 vcc, 24, v0
	ds_write_b64 v9, v[5:6]
	s_waitcnt lgkmcnt(0)
	; wave barrier
	s_and_saveexec_b64 s[0:1], vcc
	s_cbranch_execz .LBB95_12
; %bb.11:
	ds_read2_b64 v[12:15], v9 offset1:24
	s_waitcnt lgkmcnt(0)
	v_add_f32_e32 v7, v14, v12
	v_add_f32_e32 v8, v15, v13
	ds_write_b64 v9, v[7:8]
.LBB95_12:
	s_or_b64 exec, exec, s[0:1]
	s_and_b64 vcc, exec, s[12:13]
	s_waitcnt lgkmcnt(0)
	; wave barrier
	s_cbranch_vccz .LBB95_18
; %bb.13:
	v_cmp_eq_u32_e32 vcc, 0, v11
	s_and_saveexec_b64 s[0:1], vcc
	s_cbranch_execz .LBB95_15
; %bb.14:
	ds_read2_b64 v[10:13], v9 offset1:1
	s_waitcnt lgkmcnt(0)
	v_add_f32_e32 v7, v12, v10
	v_add_f32_e32 v8, v13, v11
	ds_write_b64 v9, v[7:8]
.LBB95_15:
	s_or_b64 exec, exec, s[0:1]
	v_cmp_gt_u32_e32 vcc, 12, v0
	v_mov_b32_e32 v8, v6
	v_mov_b32_e32 v7, v5
	s_waitcnt lgkmcnt(0)
	; wave barrier
	s_and_saveexec_b64 s[0:1], vcc
; %bb.16:
	v_lshl_add_u32 v7, v0, 3, v9
	ds_read_b64 v[7:8], v7
; %bb.17:
	s_or_b64 exec, exec, s[0:1]
	s_branch .LBB95_24
.LBB95_18:
                                        ; implicit-def: $vgpr8
	s_cbranch_execz .LBB95_24
; %bb.19:
	v_cmp_lt_u32_e32 vcc, 11, v0
	s_and_saveexec_b64 s[0:1], vcc
	s_xor_b64 s[0:1], exec, s[0:1]
	s_cbranch_execz .LBB95_21
; %bb.20:
	s_waitcnt lgkmcnt(0)
                                        ; implicit-def: $vgpr9
.LBB95_21:
	s_andn2_saveexec_b64 s[0:1], s[0:1]
	s_cbranch_execz .LBB95_23
; %bb.22:
	s_waitcnt lgkmcnt(0)
	ds_read2_b64 v[5:8], v9 offset1:12
	s_waitcnt lgkmcnt(0)
	v_add_f32_e32 v5, v7, v5
	v_add_f32_e32 v6, v8, v6
	ds_write_b64 v9, v[5:6]
	s_waitcnt lgkmcnt(0)
	ds_read_b64 v[5:6], v9
.LBB95_23:
	s_or_b64 exec, exec, s[0:1]
	s_waitcnt lgkmcnt(0)
	v_mov_b32_e32 v7, v5
	v_mov_b32_e32 v8, v6
.LBB95_24:
	v_cmp_gt_u32_e32 vcc, 12, v0
	s_and_b64 exec, exec, vcc
	s_cbranch_execz .LBB95_29
; %bb.25:
	v_cmp_eq_f32_e32 vcc, 0, v1
	v_cmp_eq_f32_e64 s[0:1], 0, v2
	s_waitcnt lgkmcnt(0)
	v_mul_f32_e64 v5, v8, -v4
	v_mul_f32_e32 v6, v3, v8
	s_and_b64 s[0:1], vcc, s[0:1]
	v_fmac_f32_e32 v5, v3, v7
	v_fmac_f32_e32 v6, v4, v7
	s_and_saveexec_b64 s[2:3], s[0:1]
	s_xor_b64 s[0:1], exec, s[2:3]
	s_cbranch_execz .LBB95_27
; %bb.26:
	v_mad_u64_u32 v[0:1], s[2:3], s6, 12, v[0:1]
	v_mov_b32_e32 v1, 0
	v_mov_b32_e32 v2, s9
	v_lshlrev_b64 v[0:1], 3, v[0:1]
	v_add_co_u32_e32 v0, vcc, s8, v0
	v_addc_co_u32_e32 v1, vcc, v2, v1, vcc
	global_store_dwordx2 v[0:1], v[5:6], off
                                        ; implicit-def: $vgpr0
                                        ; implicit-def: $vgpr1_vgpr2
                                        ; implicit-def: $vgpr5
.LBB95_27:
	s_andn2_saveexec_b64 s[0:1], s[0:1]
	s_cbranch_execz .LBB95_29
; %bb.28:
	v_mad_u64_u32 v[3:4], s[0:1], s6, 12, v[0:1]
	v_mov_b32_e32 v4, 0
	v_mov_b32_e32 v0, s9
	v_lshlrev_b64 v[3:4], 3, v[3:4]
	v_add_co_u32_e32 v3, vcc, s8, v3
	v_addc_co_u32_e32 v4, vcc, v0, v4, vcc
	global_load_dwordx2 v[7:8], v[3:4], off
	s_waitcnt vmcnt(0)
	v_fmac_f32_e32 v5, v1, v7
	v_fmac_f32_e32 v6, v2, v7
	v_fma_f32 v5, -v2, v8, v5
	v_fmac_f32_e32 v6, v1, v8
	global_store_dwordx2 v[3:4], v[5:6], off
.LBB95_29:
	s_endpgm
	.section	.rodata,"a",@progbits
	.p2align	6, 0x0
	.amdhsa_kernel _ZN9rocsparseL22gebsrmvn_mxn_16_kernelILj48ELj12ELj2E21rocsparse_complex_numIfEEEvi20rocsparse_direction_NS_24const_host_device_scalarIT2_EEPKiS8_PKS5_iiSA_S6_PS5_21rocsparse_index_base_b
		.amdhsa_group_segment_fixed_size 384
		.amdhsa_private_segment_fixed_size 0
		.amdhsa_kernarg_size 80
		.amdhsa_user_sgpr_count 6
		.amdhsa_user_sgpr_private_segment_buffer 1
		.amdhsa_user_sgpr_dispatch_ptr 0
		.amdhsa_user_sgpr_queue_ptr 0
		.amdhsa_user_sgpr_kernarg_segment_ptr 1
		.amdhsa_user_sgpr_dispatch_id 0
		.amdhsa_user_sgpr_flat_scratch_init 0
		.amdhsa_user_sgpr_private_segment_size 0
		.amdhsa_uses_dynamic_stack 0
		.amdhsa_system_sgpr_private_segment_wavefront_offset 0
		.amdhsa_system_sgpr_workgroup_id_x 1
		.amdhsa_system_sgpr_workgroup_id_y 0
		.amdhsa_system_sgpr_workgroup_id_z 0
		.amdhsa_system_sgpr_workgroup_info 0
		.amdhsa_system_vgpr_workitem_id 0
		.amdhsa_next_free_vgpr 17
		.amdhsa_next_free_sgpr 18
		.amdhsa_reserve_vcc 1
		.amdhsa_reserve_flat_scratch 0
		.amdhsa_float_round_mode_32 0
		.amdhsa_float_round_mode_16_64 0
		.amdhsa_float_denorm_mode_32 3
		.amdhsa_float_denorm_mode_16_64 3
		.amdhsa_dx10_clamp 1
		.amdhsa_ieee_mode 1
		.amdhsa_fp16_overflow 0
		.amdhsa_exception_fp_ieee_invalid_op 0
		.amdhsa_exception_fp_denorm_src 0
		.amdhsa_exception_fp_ieee_div_zero 0
		.amdhsa_exception_fp_ieee_overflow 0
		.amdhsa_exception_fp_ieee_underflow 0
		.amdhsa_exception_fp_ieee_inexact 0
		.amdhsa_exception_int_div_zero 0
	.end_amdhsa_kernel
	.section	.text._ZN9rocsparseL22gebsrmvn_mxn_16_kernelILj48ELj12ELj2E21rocsparse_complex_numIfEEEvi20rocsparse_direction_NS_24const_host_device_scalarIT2_EEPKiS8_PKS5_iiSA_S6_PS5_21rocsparse_index_base_b,"axG",@progbits,_ZN9rocsparseL22gebsrmvn_mxn_16_kernelILj48ELj12ELj2E21rocsparse_complex_numIfEEEvi20rocsparse_direction_NS_24const_host_device_scalarIT2_EEPKiS8_PKS5_iiSA_S6_PS5_21rocsparse_index_base_b,comdat
.Lfunc_end95:
	.size	_ZN9rocsparseL22gebsrmvn_mxn_16_kernelILj48ELj12ELj2E21rocsparse_complex_numIfEEEvi20rocsparse_direction_NS_24const_host_device_scalarIT2_EEPKiS8_PKS5_iiSA_S6_PS5_21rocsparse_index_base_b, .Lfunc_end95-_ZN9rocsparseL22gebsrmvn_mxn_16_kernelILj48ELj12ELj2E21rocsparse_complex_numIfEEEvi20rocsparse_direction_NS_24const_host_device_scalarIT2_EEPKiS8_PKS5_iiSA_S6_PS5_21rocsparse_index_base_b
                                        ; -- End function
	.set _ZN9rocsparseL22gebsrmvn_mxn_16_kernelILj48ELj12ELj2E21rocsparse_complex_numIfEEEvi20rocsparse_direction_NS_24const_host_device_scalarIT2_EEPKiS8_PKS5_iiSA_S6_PS5_21rocsparse_index_base_b.num_vgpr, 17
	.set _ZN9rocsparseL22gebsrmvn_mxn_16_kernelILj48ELj12ELj2E21rocsparse_complex_numIfEEEvi20rocsparse_direction_NS_24const_host_device_scalarIT2_EEPKiS8_PKS5_iiSA_S6_PS5_21rocsparse_index_base_b.num_agpr, 0
	.set _ZN9rocsparseL22gebsrmvn_mxn_16_kernelILj48ELj12ELj2E21rocsparse_complex_numIfEEEvi20rocsparse_direction_NS_24const_host_device_scalarIT2_EEPKiS8_PKS5_iiSA_S6_PS5_21rocsparse_index_base_b.numbered_sgpr, 18
	.set _ZN9rocsparseL22gebsrmvn_mxn_16_kernelILj48ELj12ELj2E21rocsparse_complex_numIfEEEvi20rocsparse_direction_NS_24const_host_device_scalarIT2_EEPKiS8_PKS5_iiSA_S6_PS5_21rocsparse_index_base_b.num_named_barrier, 0
	.set _ZN9rocsparseL22gebsrmvn_mxn_16_kernelILj48ELj12ELj2E21rocsparse_complex_numIfEEEvi20rocsparse_direction_NS_24const_host_device_scalarIT2_EEPKiS8_PKS5_iiSA_S6_PS5_21rocsparse_index_base_b.private_seg_size, 0
	.set _ZN9rocsparseL22gebsrmvn_mxn_16_kernelILj48ELj12ELj2E21rocsparse_complex_numIfEEEvi20rocsparse_direction_NS_24const_host_device_scalarIT2_EEPKiS8_PKS5_iiSA_S6_PS5_21rocsparse_index_base_b.uses_vcc, 1
	.set _ZN9rocsparseL22gebsrmvn_mxn_16_kernelILj48ELj12ELj2E21rocsparse_complex_numIfEEEvi20rocsparse_direction_NS_24const_host_device_scalarIT2_EEPKiS8_PKS5_iiSA_S6_PS5_21rocsparse_index_base_b.uses_flat_scratch, 0
	.set _ZN9rocsparseL22gebsrmvn_mxn_16_kernelILj48ELj12ELj2E21rocsparse_complex_numIfEEEvi20rocsparse_direction_NS_24const_host_device_scalarIT2_EEPKiS8_PKS5_iiSA_S6_PS5_21rocsparse_index_base_b.has_dyn_sized_stack, 0
	.set _ZN9rocsparseL22gebsrmvn_mxn_16_kernelILj48ELj12ELj2E21rocsparse_complex_numIfEEEvi20rocsparse_direction_NS_24const_host_device_scalarIT2_EEPKiS8_PKS5_iiSA_S6_PS5_21rocsparse_index_base_b.has_recursion, 0
	.set _ZN9rocsparseL22gebsrmvn_mxn_16_kernelILj48ELj12ELj2E21rocsparse_complex_numIfEEEvi20rocsparse_direction_NS_24const_host_device_scalarIT2_EEPKiS8_PKS5_iiSA_S6_PS5_21rocsparse_index_base_b.has_indirect_call, 0
	.section	.AMDGPU.csdata,"",@progbits
; Kernel info:
; codeLenInByte = 952
; TotalNumSgprs: 22
; NumVgprs: 17
; ScratchSize: 0
; MemoryBound: 0
; FloatMode: 240
; IeeeMode: 1
; LDSByteSize: 384 bytes/workgroup (compile time only)
; SGPRBlocks: 2
; VGPRBlocks: 4
; NumSGPRsForWavesPerEU: 22
; NumVGPRsForWavesPerEU: 17
; Occupancy: 10
; WaveLimiterHint : 1
; COMPUTE_PGM_RSRC2:SCRATCH_EN: 0
; COMPUTE_PGM_RSRC2:USER_SGPR: 6
; COMPUTE_PGM_RSRC2:TRAP_HANDLER: 0
; COMPUTE_PGM_RSRC2:TGID_X_EN: 1
; COMPUTE_PGM_RSRC2:TGID_Y_EN: 0
; COMPUTE_PGM_RSRC2:TGID_Z_EN: 0
; COMPUTE_PGM_RSRC2:TIDIG_COMP_CNT: 0
	.section	.text._ZN9rocsparseL22gebsrmvn_mxn_16_kernelILj48ELj12ELj3E21rocsparse_complex_numIfEEEvi20rocsparse_direction_NS_24const_host_device_scalarIT2_EEPKiS8_PKS5_iiSA_S6_PS5_21rocsparse_index_base_b,"axG",@progbits,_ZN9rocsparseL22gebsrmvn_mxn_16_kernelILj48ELj12ELj3E21rocsparse_complex_numIfEEEvi20rocsparse_direction_NS_24const_host_device_scalarIT2_EEPKiS8_PKS5_iiSA_S6_PS5_21rocsparse_index_base_b,comdat
	.globl	_ZN9rocsparseL22gebsrmvn_mxn_16_kernelILj48ELj12ELj3E21rocsparse_complex_numIfEEEvi20rocsparse_direction_NS_24const_host_device_scalarIT2_EEPKiS8_PKS5_iiSA_S6_PS5_21rocsparse_index_base_b ; -- Begin function _ZN9rocsparseL22gebsrmvn_mxn_16_kernelILj48ELj12ELj3E21rocsparse_complex_numIfEEEvi20rocsparse_direction_NS_24const_host_device_scalarIT2_EEPKiS8_PKS5_iiSA_S6_PS5_21rocsparse_index_base_b
	.p2align	8
	.type	_ZN9rocsparseL22gebsrmvn_mxn_16_kernelILj48ELj12ELj3E21rocsparse_complex_numIfEEEvi20rocsparse_direction_NS_24const_host_device_scalarIT2_EEPKiS8_PKS5_iiSA_S6_PS5_21rocsparse_index_base_b,@function
_ZN9rocsparseL22gebsrmvn_mxn_16_kernelILj48ELj12ELj3E21rocsparse_complex_numIfEEEvi20rocsparse_direction_NS_24const_host_device_scalarIT2_EEPKiS8_PKS5_iiSA_S6_PS5_21rocsparse_index_base_b: ; @_ZN9rocsparseL22gebsrmvn_mxn_16_kernelILj48ELj12ELj3E21rocsparse_complex_numIfEEEvi20rocsparse_direction_NS_24const_host_device_scalarIT2_EEPKiS8_PKS5_iiSA_S6_PS5_21rocsparse_index_base_b
; %bb.0:
	s_load_dwordx2 s[0:1], s[4:5], 0x8
	s_load_dwordx2 s[2:3], s[4:5], 0x38
	;; [unrolled: 1-line block ×3, first 2 shown]
	s_add_u32 s7, s4, 8
	s_addc_u32 s8, s5, 0
	s_add_u32 s9, s4, 56
	s_addc_u32 s12, s5, 0
	s_waitcnt lgkmcnt(0)
	s_bitcmp1_b32 s11, 0
	s_cselect_b32 s1, s8, s1
	s_cselect_b32 s0, s7, s0
	v_mov_b32_e32 v1, s0
	v_mov_b32_e32 v2, s1
	flat_load_dwordx2 v[3:4], v[1:2]
	s_cselect_b32 s0, s12, s3
	s_cselect_b32 s1, s9, s2
	v_mov_b32_e32 v1, s1
	v_mov_b32_e32 v2, s0
	flat_load_dwordx2 v[1:2], v[1:2]
	s_waitcnt vmcnt(0) lgkmcnt(0)
	v_cmp_eq_f32_e32 vcc, 0, v3
	v_cmp_eq_f32_e64 s[0:1], 0, v4
	s_and_b64 s[8:9], vcc, s[0:1]
	s_mov_b64 s[0:1], -1
	s_and_saveexec_b64 s[2:3], s[8:9]
; %bb.1:
	v_cmp_neq_f32_e32 vcc, 1.0, v1
	v_cmp_neq_f32_e64 s[0:1], 0, v2
	s_or_b64 s[0:1], vcc, s[0:1]
	s_orn2_b64 s[0:1], s[0:1], exec
; %bb.2:
	s_or_b64 exec, exec, s[2:3]
	s_and_saveexec_b64 s[2:3], s[0:1]
	s_cbranch_execz .LBB96_31
; %bb.3:
	s_load_dwordx2 s[0:1], s[4:5], 0x10
	s_load_dword s2, s[4:5], 0x4
	v_mul_u32_u24_e32 v6, 0x5556, v0
	v_mov_b32_e32 v5, 3
	v_mul_lo_u16_sdwa v6, v6, v5 dst_sel:DWORD dst_unused:UNUSED_PAD src0_sel:WORD_1 src1_sel:DWORD
	v_sub_u16_e32 v12, v0, v6
	s_waitcnt lgkmcnt(0)
	s_cmp_lg_u32 s2, 1
	s_cselect_b64 s[12:13], -1, 0
	s_and_b64 vcc, exec, s[12:13]
	v_mov_b32_e32 v7, v12
	s_cbranch_vccnz .LBB96_5
; %bb.4:
	s_movk_i32 s2, 0x1556
	v_mul_u32_u24_sdwa v6, v0, s2 dst_sel:DWORD dst_unused:UNUSED_PAD src0_sel:WORD_0 src1_sel:DWORD
	s_movk_i32 s2, 0x56
	v_mul_lo_u16_sdwa v7, v6, s2 dst_sel:DWORD dst_unused:UNUSED_PAD src0_sel:WORD_1 src1_sel:DWORD
	v_mul_lo_u16_sdwa v5, v7, v5 dst_sel:DWORD dst_unused:UNUSED_PAD src0_sel:BYTE_1 src1_sel:DWORD
	v_sub_u16_sdwa v5, v6, v5 dst_sel:DWORD dst_unused:UNUSED_PAD src0_sel:WORD_1 src1_sel:DWORD
	v_and_b32_e32 v7, 0xff, v5
.LBB96_5:
	s_ashr_i32 s7, s6, 31
	s_lshl_b64 s[2:3], s[6:7], 2
	s_add_u32 s0, s0, s2
	s_addc_u32 s1, s1, s3
	s_load_dwordx2 s[16:17], s[0:1], 0x0
	s_load_dwordx2 s[8:9], s[4:5], 0x40
	v_mov_b32_e32 v6, 0
	v_mov_b32_e32 v5, 0
	s_waitcnt lgkmcnt(0)
	s_cmp_ge_i32 s16, s17
	s_cbranch_scc1 .LBB96_10
; %bb.6:
	s_load_dwordx4 s[0:3], s[4:5], 0x18
	s_load_dwordx2 s[14:15], s[4:5], 0x30
	v_mad_u64_u32 v[5:6], s[4:5], s16, 36, v[0:1]
	s_movk_i32 s4, 0x71d
	v_mul_u32_u24_sdwa v13, v0, s4 dst_sel:DWORD dst_unused:UNUSED_PAD src0_sel:WORD_0 src1_sel:DWORD
	s_mul_i32 s4, s10, 36
	v_mov_b32_e32 v9, 0
	s_sub_i32 s7, s17, s10
	s_sub_i32 s11, s16, s10
	v_subrev_u32_e32 v8, s4, v5
	v_mov_b32_e32 v6, v9
	v_mov_b32_e32 v5, v9
	s_branch .LBB96_8
.LBB96_7:                               ;   in Loop: Header=BB96_8 Depth=1
	s_or_b64 exec, exec, s[4:5]
	s_add_i32 s11, s11, 1
	s_cmp_ge_i32 s11, s7
	v_add_u32_e32 v8, 36, v8
	s_cbranch_scc1 .LBB96_10
.LBB96_8:                               ; =>This Inner Loop Header: Depth=1
	v_add_u32_sdwa v10, v13, s11 dst_sel:DWORD dst_unused:UNUSED_PAD src0_sel:WORD_1 src1_sel:DWORD
	v_cmp_gt_i32_e32 vcc, s7, v10
	s_and_saveexec_b64 s[4:5], vcc
	s_cbranch_execz .LBB96_7
; %bb.9:                                ;   in Loop: Header=BB96_8 Depth=1
	v_ashrrev_i32_e32 v11, 31, v10
	v_lshlrev_b64 v[10:11], 2, v[10:11]
	s_waitcnt lgkmcnt(0)
	v_mov_b32_e32 v14, s1
	v_add_co_u32_e32 v10, vcc, s0, v10
	v_addc_co_u32_e32 v11, vcc, v14, v11, vcc
	global_load_dword v14, v[10:11], off
	v_lshlrev_b64 v[10:11], 3, v[8:9]
	v_mov_b32_e32 v16, s3
	v_add_co_u32_e32 v10, vcc, s2, v10
	v_addc_co_u32_e32 v11, vcc, v16, v11, vcc
	v_mov_b32_e32 v17, s15
	global_load_dwordx2 v[10:11], v[10:11], off
	s_waitcnt vmcnt(1)
	v_subrev_u32_e32 v14, s10, v14
	v_mad_u64_u32 v[14:15], s[16:17], v14, 3, v[7:8]
	v_ashrrev_i32_e32 v15, 31, v14
	v_lshlrev_b64 v[14:15], 3, v[14:15]
	v_add_co_u32_e32 v14, vcc, s14, v14
	v_addc_co_u32_e32 v15, vcc, v17, v15, vcc
	global_load_dwordx2 v[14:15], v[14:15], off
	s_waitcnt vmcnt(0)
	v_fmac_f32_e32 v5, v10, v14
	v_fmac_f32_e32 v6, v11, v14
	v_fma_f32 v5, -v11, v15, v5
	v_fmac_f32_e32 v6, v10, v15
	s_branch .LBB96_7
.LBB96_10:
	v_lshlrev_b32_e32 v9, 3, v0
	s_and_b64 vcc, exec, s[12:13]
	ds_write_b64 v9, v[5:6]
	s_waitcnt lgkmcnt(0)
	; wave barrier
	s_cbranch_vccz .LBB96_18
; %bb.11:
	v_cmp_eq_u16_e32 vcc, 0, v12
	s_and_saveexec_b64 s[0:1], vcc
	s_cbranch_execz .LBB96_13
; %bb.12:
	ds_read2_b64 v[10:13], v9 offset1:2
	s_waitcnt lgkmcnt(0)
	v_add_f32_e32 v7, v12, v10
	v_add_f32_e32 v8, v13, v11
	ds_write_b64 v9, v[7:8]
.LBB96_13:
	s_or_b64 exec, exec, s[0:1]
	s_waitcnt lgkmcnt(0)
	; wave barrier
	s_and_saveexec_b64 s[0:1], vcc
	s_cbranch_execz .LBB96_15
; %bb.14:
	ds_read2_b64 v[10:13], v9 offset1:1
	s_waitcnt lgkmcnt(0)
	v_add_f32_e32 v7, v12, v10
	v_add_f32_e32 v8, v13, v11
	ds_write_b64 v9, v[7:8]
.LBB96_15:
	s_or_b64 exec, exec, s[0:1]
	v_cmp_gt_u32_e32 vcc, 12, v0
	v_mov_b32_e32 v8, v6
	v_mov_b32_e32 v7, v5
	s_waitcnt lgkmcnt(0)
	; wave barrier
	s_and_saveexec_b64 s[0:1], vcc
; %bb.16:
	v_lshl_add_u32 v7, v0, 4, v9
	ds_read_b64 v[7:8], v7
; %bb.17:
	s_or_b64 exec, exec, s[0:1]
	v_cmp_gt_u32_e64 s[0:1], 12, v0
	s_branch .LBB96_26
.LBB96_18:
                                        ; implicit-def: $vgpr8
	v_cmp_gt_u32_e64 s[0:1], 12, v0
	s_cbranch_execz .LBB96_26
; %bb.19:
	v_cmp_lt_u32_e32 vcc, 11, v0
	s_and_saveexec_b64 s[2:3], s[0:1]
	s_cbranch_execz .LBB96_21
; %bb.20:
	ds_read2_b64 v[10:13], v9 offset1:24
	s_waitcnt lgkmcnt(0)
	v_add_f32_e32 v7, v12, v10
	v_add_f32_e32 v8, v13, v11
	ds_write_b64 v9, v[7:8]
.LBB96_21:
	s_or_b64 exec, exec, s[2:3]
	s_waitcnt lgkmcnt(0)
	; wave barrier
	s_and_saveexec_b64 s[0:1], vcc
	s_xor_b64 s[0:1], exec, s[0:1]
; %bb.22:
                                        ; implicit-def: $vgpr9
; %bb.23:
	s_andn2_saveexec_b64 s[0:1], s[0:1]
	s_cbranch_execz .LBB96_25
; %bb.24:
	ds_read2_b64 v[5:8], v9 offset1:12
	s_waitcnt lgkmcnt(0)
	v_add_f32_e32 v5, v7, v5
	v_add_f32_e32 v6, v8, v6
	ds_write_b64 v9, v[5:6]
	s_waitcnt lgkmcnt(0)
	ds_read_b64 v[5:6], v9
.LBB96_25:
	s_or_b64 exec, exec, s[0:1]
	s_waitcnt lgkmcnt(0)
	v_mov_b32_e32 v8, v6
	v_mov_b32_e32 v7, v5
.LBB96_26:
	v_cmp_gt_u32_e32 vcc, 12, v0
	s_and_b64 exec, exec, vcc
	s_cbranch_execz .LBB96_31
; %bb.27:
	v_cmp_eq_f32_e32 vcc, 0, v1
	v_cmp_eq_f32_e64 s[0:1], 0, v2
	s_waitcnt lgkmcnt(0)
	v_mul_f32_e64 v5, v8, -v4
	v_mul_f32_e32 v6, v3, v8
	s_and_b64 s[0:1], vcc, s[0:1]
	v_fmac_f32_e32 v5, v3, v7
	v_fmac_f32_e32 v6, v4, v7
	s_and_saveexec_b64 s[2:3], s[0:1]
	s_xor_b64 s[0:1], exec, s[2:3]
	s_cbranch_execz .LBB96_29
; %bb.28:
	v_mad_u64_u32 v[0:1], s[2:3], s6, 12, v[0:1]
	v_mov_b32_e32 v1, 0
	v_mov_b32_e32 v2, s9
	v_lshlrev_b64 v[0:1], 3, v[0:1]
	v_add_co_u32_e32 v0, vcc, s8, v0
	v_addc_co_u32_e32 v1, vcc, v2, v1, vcc
	global_store_dwordx2 v[0:1], v[5:6], off
                                        ; implicit-def: $vgpr0
                                        ; implicit-def: $vgpr1_vgpr2
                                        ; implicit-def: $vgpr5
.LBB96_29:
	s_andn2_saveexec_b64 s[0:1], s[0:1]
	s_cbranch_execz .LBB96_31
; %bb.30:
	v_mad_u64_u32 v[3:4], s[0:1], s6, 12, v[0:1]
	v_mov_b32_e32 v4, 0
	v_mov_b32_e32 v0, s9
	v_lshlrev_b64 v[3:4], 3, v[3:4]
	v_add_co_u32_e32 v3, vcc, s8, v3
	v_addc_co_u32_e32 v4, vcc, v0, v4, vcc
	global_load_dwordx2 v[7:8], v[3:4], off
	s_waitcnt vmcnt(0)
	v_fmac_f32_e32 v5, v1, v7
	v_fmac_f32_e32 v6, v2, v7
	v_fma_f32 v5, -v2, v8, v5
	v_fmac_f32_e32 v6, v1, v8
	global_store_dwordx2 v[3:4], v[5:6], off
.LBB96_31:
	s_endpgm
	.section	.rodata,"a",@progbits
	.p2align	6, 0x0
	.amdhsa_kernel _ZN9rocsparseL22gebsrmvn_mxn_16_kernelILj48ELj12ELj3E21rocsparse_complex_numIfEEEvi20rocsparse_direction_NS_24const_host_device_scalarIT2_EEPKiS8_PKS5_iiSA_S6_PS5_21rocsparse_index_base_b
		.amdhsa_group_segment_fixed_size 288
		.amdhsa_private_segment_fixed_size 0
		.amdhsa_kernarg_size 80
		.amdhsa_user_sgpr_count 6
		.amdhsa_user_sgpr_private_segment_buffer 1
		.amdhsa_user_sgpr_dispatch_ptr 0
		.amdhsa_user_sgpr_queue_ptr 0
		.amdhsa_user_sgpr_kernarg_segment_ptr 1
		.amdhsa_user_sgpr_dispatch_id 0
		.amdhsa_user_sgpr_flat_scratch_init 0
		.amdhsa_user_sgpr_private_segment_size 0
		.amdhsa_uses_dynamic_stack 0
		.amdhsa_system_sgpr_private_segment_wavefront_offset 0
		.amdhsa_system_sgpr_workgroup_id_x 1
		.amdhsa_system_sgpr_workgroup_id_y 0
		.amdhsa_system_sgpr_workgroup_id_z 0
		.amdhsa_system_sgpr_workgroup_info 0
		.amdhsa_system_vgpr_workitem_id 0
		.amdhsa_next_free_vgpr 18
		.amdhsa_next_free_sgpr 18
		.amdhsa_reserve_vcc 1
		.amdhsa_reserve_flat_scratch 0
		.amdhsa_float_round_mode_32 0
		.amdhsa_float_round_mode_16_64 0
		.amdhsa_float_denorm_mode_32 3
		.amdhsa_float_denorm_mode_16_64 3
		.amdhsa_dx10_clamp 1
		.amdhsa_ieee_mode 1
		.amdhsa_fp16_overflow 0
		.amdhsa_exception_fp_ieee_invalid_op 0
		.amdhsa_exception_fp_denorm_src 0
		.amdhsa_exception_fp_ieee_div_zero 0
		.amdhsa_exception_fp_ieee_overflow 0
		.amdhsa_exception_fp_ieee_underflow 0
		.amdhsa_exception_fp_ieee_inexact 0
		.amdhsa_exception_int_div_zero 0
	.end_amdhsa_kernel
	.section	.text._ZN9rocsparseL22gebsrmvn_mxn_16_kernelILj48ELj12ELj3E21rocsparse_complex_numIfEEEvi20rocsparse_direction_NS_24const_host_device_scalarIT2_EEPKiS8_PKS5_iiSA_S6_PS5_21rocsparse_index_base_b,"axG",@progbits,_ZN9rocsparseL22gebsrmvn_mxn_16_kernelILj48ELj12ELj3E21rocsparse_complex_numIfEEEvi20rocsparse_direction_NS_24const_host_device_scalarIT2_EEPKiS8_PKS5_iiSA_S6_PS5_21rocsparse_index_base_b,comdat
.Lfunc_end96:
	.size	_ZN9rocsparseL22gebsrmvn_mxn_16_kernelILj48ELj12ELj3E21rocsparse_complex_numIfEEEvi20rocsparse_direction_NS_24const_host_device_scalarIT2_EEPKiS8_PKS5_iiSA_S6_PS5_21rocsparse_index_base_b, .Lfunc_end96-_ZN9rocsparseL22gebsrmvn_mxn_16_kernelILj48ELj12ELj3E21rocsparse_complex_numIfEEEvi20rocsparse_direction_NS_24const_host_device_scalarIT2_EEPKiS8_PKS5_iiSA_S6_PS5_21rocsparse_index_base_b
                                        ; -- End function
	.set _ZN9rocsparseL22gebsrmvn_mxn_16_kernelILj48ELj12ELj3E21rocsparse_complex_numIfEEEvi20rocsparse_direction_NS_24const_host_device_scalarIT2_EEPKiS8_PKS5_iiSA_S6_PS5_21rocsparse_index_base_b.num_vgpr, 18
	.set _ZN9rocsparseL22gebsrmvn_mxn_16_kernelILj48ELj12ELj3E21rocsparse_complex_numIfEEEvi20rocsparse_direction_NS_24const_host_device_scalarIT2_EEPKiS8_PKS5_iiSA_S6_PS5_21rocsparse_index_base_b.num_agpr, 0
	.set _ZN9rocsparseL22gebsrmvn_mxn_16_kernelILj48ELj12ELj3E21rocsparse_complex_numIfEEEvi20rocsparse_direction_NS_24const_host_device_scalarIT2_EEPKiS8_PKS5_iiSA_S6_PS5_21rocsparse_index_base_b.numbered_sgpr, 18
	.set _ZN9rocsparseL22gebsrmvn_mxn_16_kernelILj48ELj12ELj3E21rocsparse_complex_numIfEEEvi20rocsparse_direction_NS_24const_host_device_scalarIT2_EEPKiS8_PKS5_iiSA_S6_PS5_21rocsparse_index_base_b.num_named_barrier, 0
	.set _ZN9rocsparseL22gebsrmvn_mxn_16_kernelILj48ELj12ELj3E21rocsparse_complex_numIfEEEvi20rocsparse_direction_NS_24const_host_device_scalarIT2_EEPKiS8_PKS5_iiSA_S6_PS5_21rocsparse_index_base_b.private_seg_size, 0
	.set _ZN9rocsparseL22gebsrmvn_mxn_16_kernelILj48ELj12ELj3E21rocsparse_complex_numIfEEEvi20rocsparse_direction_NS_24const_host_device_scalarIT2_EEPKiS8_PKS5_iiSA_S6_PS5_21rocsparse_index_base_b.uses_vcc, 1
	.set _ZN9rocsparseL22gebsrmvn_mxn_16_kernelILj48ELj12ELj3E21rocsparse_complex_numIfEEEvi20rocsparse_direction_NS_24const_host_device_scalarIT2_EEPKiS8_PKS5_iiSA_S6_PS5_21rocsparse_index_base_b.uses_flat_scratch, 0
	.set _ZN9rocsparseL22gebsrmvn_mxn_16_kernelILj48ELj12ELj3E21rocsparse_complex_numIfEEEvi20rocsparse_direction_NS_24const_host_device_scalarIT2_EEPKiS8_PKS5_iiSA_S6_PS5_21rocsparse_index_base_b.has_dyn_sized_stack, 0
	.set _ZN9rocsparseL22gebsrmvn_mxn_16_kernelILj48ELj12ELj3E21rocsparse_complex_numIfEEEvi20rocsparse_direction_NS_24const_host_device_scalarIT2_EEPKiS8_PKS5_iiSA_S6_PS5_21rocsparse_index_base_b.has_recursion, 0
	.set _ZN9rocsparseL22gebsrmvn_mxn_16_kernelILj48ELj12ELj3E21rocsparse_complex_numIfEEEvi20rocsparse_direction_NS_24const_host_device_scalarIT2_EEPKiS8_PKS5_iiSA_S6_PS5_21rocsparse_index_base_b.has_indirect_call, 0
	.section	.AMDGPU.csdata,"",@progbits
; Kernel info:
; codeLenInByte = 1052
; TotalNumSgprs: 22
; NumVgprs: 18
; ScratchSize: 0
; MemoryBound: 0
; FloatMode: 240
; IeeeMode: 1
; LDSByteSize: 288 bytes/workgroup (compile time only)
; SGPRBlocks: 2
; VGPRBlocks: 4
; NumSGPRsForWavesPerEU: 22
; NumVGPRsForWavesPerEU: 18
; Occupancy: 10
; WaveLimiterHint : 1
; COMPUTE_PGM_RSRC2:SCRATCH_EN: 0
; COMPUTE_PGM_RSRC2:USER_SGPR: 6
; COMPUTE_PGM_RSRC2:TRAP_HANDLER: 0
; COMPUTE_PGM_RSRC2:TGID_X_EN: 1
; COMPUTE_PGM_RSRC2:TGID_Y_EN: 0
; COMPUTE_PGM_RSRC2:TGID_Z_EN: 0
; COMPUTE_PGM_RSRC2:TIDIG_COMP_CNT: 0
	.section	.text._ZN9rocsparseL22gebsrmvn_mxn_16_kernelILj60ELj12ELj4E21rocsparse_complex_numIfEEEvi20rocsparse_direction_NS_24const_host_device_scalarIT2_EEPKiS8_PKS5_iiSA_S6_PS5_21rocsparse_index_base_b,"axG",@progbits,_ZN9rocsparseL22gebsrmvn_mxn_16_kernelILj60ELj12ELj4E21rocsparse_complex_numIfEEEvi20rocsparse_direction_NS_24const_host_device_scalarIT2_EEPKiS8_PKS5_iiSA_S6_PS5_21rocsparse_index_base_b,comdat
	.globl	_ZN9rocsparseL22gebsrmvn_mxn_16_kernelILj60ELj12ELj4E21rocsparse_complex_numIfEEEvi20rocsparse_direction_NS_24const_host_device_scalarIT2_EEPKiS8_PKS5_iiSA_S6_PS5_21rocsparse_index_base_b ; -- Begin function _ZN9rocsparseL22gebsrmvn_mxn_16_kernelILj60ELj12ELj4E21rocsparse_complex_numIfEEEvi20rocsparse_direction_NS_24const_host_device_scalarIT2_EEPKiS8_PKS5_iiSA_S6_PS5_21rocsparse_index_base_b
	.p2align	8
	.type	_ZN9rocsparseL22gebsrmvn_mxn_16_kernelILj60ELj12ELj4E21rocsparse_complex_numIfEEEvi20rocsparse_direction_NS_24const_host_device_scalarIT2_EEPKiS8_PKS5_iiSA_S6_PS5_21rocsparse_index_base_b,@function
_ZN9rocsparseL22gebsrmvn_mxn_16_kernelILj60ELj12ELj4E21rocsparse_complex_numIfEEEvi20rocsparse_direction_NS_24const_host_device_scalarIT2_EEPKiS8_PKS5_iiSA_S6_PS5_21rocsparse_index_base_b: ; @_ZN9rocsparseL22gebsrmvn_mxn_16_kernelILj60ELj12ELj4E21rocsparse_complex_numIfEEEvi20rocsparse_direction_NS_24const_host_device_scalarIT2_EEPKiS8_PKS5_iiSA_S6_PS5_21rocsparse_index_base_b
; %bb.0:
	s_load_dwordx2 s[0:1], s[4:5], 0x8
	s_load_dwordx2 s[2:3], s[4:5], 0x38
	s_load_dwordx2 s[10:11], s[4:5], 0x48
	s_add_u32 s7, s4, 8
	s_addc_u32 s8, s5, 0
	s_add_u32 s9, s4, 56
	s_addc_u32 s12, s5, 0
	s_waitcnt lgkmcnt(0)
	s_bitcmp1_b32 s11, 0
	s_cselect_b32 s1, s8, s1
	s_cselect_b32 s0, s7, s0
	v_mov_b32_e32 v1, s0
	v_mov_b32_e32 v2, s1
	flat_load_dwordx2 v[3:4], v[1:2]
	s_cselect_b32 s0, s12, s3
	s_cselect_b32 s1, s9, s2
	v_mov_b32_e32 v1, s1
	v_mov_b32_e32 v2, s0
	flat_load_dwordx2 v[1:2], v[1:2]
	s_waitcnt vmcnt(0) lgkmcnt(0)
	v_cmp_eq_f32_e32 vcc, 0, v3
	v_cmp_eq_f32_e64 s[0:1], 0, v4
	s_and_b64 s[8:9], vcc, s[0:1]
	s_mov_b64 s[0:1], -1
	s_and_saveexec_b64 s[2:3], s[8:9]
; %bb.1:
	v_cmp_neq_f32_e32 vcc, 1.0, v1
	v_cmp_neq_f32_e64 s[0:1], 0, v2
	s_or_b64 s[0:1], vcc, s[0:1]
	s_orn2_b64 s[0:1], s[0:1], exec
; %bb.2:
	s_or_b64 exec, exec, s[2:3]
	s_and_saveexec_b64 s[2:3], s[0:1]
	s_cbranch_execz .LBB97_31
; %bb.3:
	s_load_dword s2, s[4:5], 0x4
	s_load_dwordx2 s[0:1], s[4:5], 0x10
	v_and_b32_e32 v11, 3, v0
	v_mov_b32_e32 v12, v11
	s_waitcnt lgkmcnt(0)
	s_cmp_lg_u32 s2, 1
	s_cselect_b64 s[12:13], -1, 0
	s_and_b64 vcc, exec, s[12:13]
	s_cbranch_vccnz .LBB97_5
; %bb.4:
	v_mul_u32_u24_e32 v5, 0x1556, v0
	v_bfe_u32 v12, v5, 16, 2
.LBB97_5:
	s_ashr_i32 s7, s6, 31
	s_lshl_b64 s[2:3], s[6:7], 2
	s_add_u32 s0, s0, s2
	s_addc_u32 s1, s1, s3
	s_load_dwordx2 s[16:17], s[0:1], 0x0
	s_load_dwordx2 s[8:9], s[4:5], 0x40
	v_mov_b32_e32 v6, 0
	v_mov_b32_e32 v5, 0
	s_waitcnt lgkmcnt(0)
	s_cmp_ge_i32 s16, s17
	s_cbranch_scc1 .LBB97_10
; %bb.6:
	s_load_dwordx4 s[0:3], s[4:5], 0x18
	s_load_dwordx2 s[14:15], s[4:5], 0x30
	v_mad_u64_u32 v[5:6], s[4:5], s16, 48, v[0:1]
	s_mul_i32 s4, s10, 48
	v_mov_b32_e32 v8, 0
	s_sub_i32 s7, s17, s10
	s_sub_i32 s11, s16, s10
	v_mul_u32_u24_e32 v13, 0x556, v0
	v_subrev_u32_e32 v7, s4, v5
	v_mov_b32_e32 v6, v8
	v_mov_b32_e32 v5, v8
	s_branch .LBB97_8
.LBB97_7:                               ;   in Loop: Header=BB97_8 Depth=1
	s_or_b64 exec, exec, s[4:5]
	s_add_i32 s11, s11, 1
	s_cmp_ge_i32 s11, s7
	v_add_u32_e32 v7, 48, v7
	s_cbranch_scc1 .LBB97_10
.LBB97_8:                               ; =>This Inner Loop Header: Depth=1
	v_add_u32_sdwa v9, v13, s11 dst_sel:DWORD dst_unused:UNUSED_PAD src0_sel:WORD_1 src1_sel:DWORD
	v_cmp_gt_i32_e32 vcc, s7, v9
	s_and_saveexec_b64 s[4:5], vcc
	s_cbranch_execz .LBB97_7
; %bb.9:                                ;   in Loop: Header=BB97_8 Depth=1
	v_ashrrev_i32_e32 v10, 31, v9
	v_lshlrev_b64 v[9:10], 2, v[9:10]
	s_waitcnt lgkmcnt(0)
	v_mov_b32_e32 v14, s1
	v_add_co_u32_e32 v9, vcc, s0, v9
	v_addc_co_u32_e32 v10, vcc, v14, v10, vcc
	global_load_dword v14, v[9:10], off
	v_lshlrev_b64 v[9:10], 3, v[7:8]
	v_mov_b32_e32 v15, s3
	v_add_co_u32_e32 v9, vcc, s2, v9
	v_addc_co_u32_e32 v10, vcc, v15, v10, vcc
	v_mov_b32_e32 v16, s15
	global_load_dwordx2 v[9:10], v[9:10], off
	s_waitcnt vmcnt(1)
	v_subrev_u32_e32 v14, s10, v14
	v_lshl_or_b32 v14, v14, 2, v12
	v_ashrrev_i32_e32 v15, 31, v14
	v_lshlrev_b64 v[14:15], 3, v[14:15]
	v_add_co_u32_e32 v14, vcc, s14, v14
	v_addc_co_u32_e32 v15, vcc, v16, v15, vcc
	global_load_dwordx2 v[14:15], v[14:15], off
	s_waitcnt vmcnt(0)
	v_fmac_f32_e32 v5, v9, v14
	v_fmac_f32_e32 v6, v10, v14
	v_fma_f32 v5, -v10, v15, v5
	v_fmac_f32_e32 v6, v9, v15
	s_branch .LBB97_7
.LBB97_10:
	v_lshlrev_b32_e32 v9, 3, v0
	s_and_b64 vcc, exec, s[12:13]
	ds_write_b64 v9, v[5:6]
	s_waitcnt lgkmcnt(0)
	; wave barrier
	s_cbranch_vccz .LBB97_18
; %bb.11:
	v_cmp_gt_u32_e32 vcc, 2, v11
	s_and_saveexec_b64 s[0:1], vcc
	s_cbranch_execz .LBB97_13
; %bb.12:
	ds_read2_b64 v[12:15], v9 offset1:2
	s_waitcnt lgkmcnt(0)
	v_add_f32_e32 v7, v14, v12
	v_add_f32_e32 v8, v15, v13
	ds_write_b64 v9, v[7:8]
.LBB97_13:
	s_or_b64 exec, exec, s[0:1]
	v_cmp_eq_u32_e32 vcc, 0, v11
	s_waitcnt lgkmcnt(0)
	; wave barrier
	s_and_saveexec_b64 s[0:1], vcc
	s_cbranch_execz .LBB97_15
; %bb.14:
	ds_read2_b64 v[10:13], v9 offset1:1
	s_waitcnt lgkmcnt(0)
	v_add_f32_e32 v7, v12, v10
	v_add_f32_e32 v8, v13, v11
	ds_write_b64 v9, v[7:8]
.LBB97_15:
	s_or_b64 exec, exec, s[0:1]
	v_cmp_gt_u32_e32 vcc, 12, v0
	v_mov_b32_e32 v8, v6
	v_mov_b32_e32 v7, v5
	s_waitcnt lgkmcnt(0)
	; wave barrier
	s_and_saveexec_b64 s[0:1], vcc
; %bb.16:
	v_mad_u32_u24 v7, v0, 24, v9
	ds_read_b64 v[7:8], v7
; %bb.17:
	s_or_b64 exec, exec, s[0:1]
	s_branch .LBB97_26
.LBB97_18:
                                        ; implicit-def: $vgpr8
	s_cbranch_execz .LBB97_26
; %bb.19:
	v_cmp_gt_u32_e32 vcc, 24, v0
	s_and_saveexec_b64 s[0:1], vcc
	s_cbranch_execz .LBB97_21
; %bb.20:
	ds_read2_b64 v[10:13], v9 offset1:24
	s_waitcnt lgkmcnt(0)
	v_add_f32_e32 v7, v12, v10
	v_add_f32_e32 v8, v13, v11
	ds_write_b64 v9, v[7:8]
.LBB97_21:
	s_or_b64 exec, exec, s[0:1]
	v_cmp_lt_u32_e32 vcc, 11, v0
	s_waitcnt lgkmcnt(0)
	s_and_saveexec_b64 s[0:1], vcc
	s_xor_b64 s[0:1], exec, s[0:1]
; %bb.22:
                                        ; implicit-def: $vgpr9
; %bb.23:
	s_andn2_saveexec_b64 s[0:1], s[0:1]
	s_cbranch_execz .LBB97_25
; %bb.24:
	ds_read2_b64 v[5:8], v9 offset1:12
	s_waitcnt lgkmcnt(0)
	v_add_f32_e32 v5, v7, v5
	v_add_f32_e32 v6, v8, v6
	ds_write_b64 v9, v[5:6]
	s_waitcnt lgkmcnt(0)
	ds_read_b64 v[5:6], v9
.LBB97_25:
	s_or_b64 exec, exec, s[0:1]
	s_waitcnt lgkmcnt(0)
	v_mov_b32_e32 v8, v6
	v_mov_b32_e32 v7, v5
.LBB97_26:
	v_cmp_gt_u32_e32 vcc, 12, v0
	s_and_b64 exec, exec, vcc
	s_cbranch_execz .LBB97_31
; %bb.27:
	v_cmp_eq_f32_e32 vcc, 0, v1
	v_cmp_eq_f32_e64 s[0:1], 0, v2
	s_waitcnt lgkmcnt(0)
	v_mul_f32_e64 v5, v8, -v4
	v_mul_f32_e32 v6, v3, v8
	s_and_b64 s[0:1], vcc, s[0:1]
	v_fmac_f32_e32 v5, v3, v7
	v_fmac_f32_e32 v6, v4, v7
	s_and_saveexec_b64 s[2:3], s[0:1]
	s_xor_b64 s[0:1], exec, s[2:3]
	s_cbranch_execz .LBB97_29
; %bb.28:
	v_mad_u64_u32 v[0:1], s[2:3], s6, 12, v[0:1]
	v_mov_b32_e32 v1, 0
	v_mov_b32_e32 v2, s9
	v_lshlrev_b64 v[0:1], 3, v[0:1]
	v_add_co_u32_e32 v0, vcc, s8, v0
	v_addc_co_u32_e32 v1, vcc, v2, v1, vcc
	global_store_dwordx2 v[0:1], v[5:6], off
                                        ; implicit-def: $vgpr0
                                        ; implicit-def: $vgpr1_vgpr2
                                        ; implicit-def: $vgpr5
.LBB97_29:
	s_andn2_saveexec_b64 s[0:1], s[0:1]
	s_cbranch_execz .LBB97_31
; %bb.30:
	v_mad_u64_u32 v[3:4], s[0:1], s6, 12, v[0:1]
	v_mov_b32_e32 v4, 0
	v_mov_b32_e32 v0, s9
	v_lshlrev_b64 v[3:4], 3, v[3:4]
	v_add_co_u32_e32 v3, vcc, s8, v3
	v_addc_co_u32_e32 v4, vcc, v0, v4, vcc
	global_load_dwordx2 v[7:8], v[3:4], off
	s_waitcnt vmcnt(0)
	v_fmac_f32_e32 v5, v1, v7
	v_fmac_f32_e32 v6, v2, v7
	v_fma_f32 v5, -v2, v8, v5
	v_fmac_f32_e32 v6, v1, v8
	global_store_dwordx2 v[3:4], v[5:6], off
.LBB97_31:
	s_endpgm
	.section	.rodata,"a",@progbits
	.p2align	6, 0x0
	.amdhsa_kernel _ZN9rocsparseL22gebsrmvn_mxn_16_kernelILj60ELj12ELj4E21rocsparse_complex_numIfEEEvi20rocsparse_direction_NS_24const_host_device_scalarIT2_EEPKiS8_PKS5_iiSA_S6_PS5_21rocsparse_index_base_b
		.amdhsa_group_segment_fixed_size 384
		.amdhsa_private_segment_fixed_size 0
		.amdhsa_kernarg_size 80
		.amdhsa_user_sgpr_count 6
		.amdhsa_user_sgpr_private_segment_buffer 1
		.amdhsa_user_sgpr_dispatch_ptr 0
		.amdhsa_user_sgpr_queue_ptr 0
		.amdhsa_user_sgpr_kernarg_segment_ptr 1
		.amdhsa_user_sgpr_dispatch_id 0
		.amdhsa_user_sgpr_flat_scratch_init 0
		.amdhsa_user_sgpr_private_segment_size 0
		.amdhsa_uses_dynamic_stack 0
		.amdhsa_system_sgpr_private_segment_wavefront_offset 0
		.amdhsa_system_sgpr_workgroup_id_x 1
		.amdhsa_system_sgpr_workgroup_id_y 0
		.amdhsa_system_sgpr_workgroup_id_z 0
		.amdhsa_system_sgpr_workgroup_info 0
		.amdhsa_system_vgpr_workitem_id 0
		.amdhsa_next_free_vgpr 17
		.amdhsa_next_free_sgpr 18
		.amdhsa_reserve_vcc 1
		.amdhsa_reserve_flat_scratch 0
		.amdhsa_float_round_mode_32 0
		.amdhsa_float_round_mode_16_64 0
		.amdhsa_float_denorm_mode_32 3
		.amdhsa_float_denorm_mode_16_64 3
		.amdhsa_dx10_clamp 1
		.amdhsa_ieee_mode 1
		.amdhsa_fp16_overflow 0
		.amdhsa_exception_fp_ieee_invalid_op 0
		.amdhsa_exception_fp_denorm_src 0
		.amdhsa_exception_fp_ieee_div_zero 0
		.amdhsa_exception_fp_ieee_overflow 0
		.amdhsa_exception_fp_ieee_underflow 0
		.amdhsa_exception_fp_ieee_inexact 0
		.amdhsa_exception_int_div_zero 0
	.end_amdhsa_kernel
	.section	.text._ZN9rocsparseL22gebsrmvn_mxn_16_kernelILj60ELj12ELj4E21rocsparse_complex_numIfEEEvi20rocsparse_direction_NS_24const_host_device_scalarIT2_EEPKiS8_PKS5_iiSA_S6_PS5_21rocsparse_index_base_b,"axG",@progbits,_ZN9rocsparseL22gebsrmvn_mxn_16_kernelILj60ELj12ELj4E21rocsparse_complex_numIfEEEvi20rocsparse_direction_NS_24const_host_device_scalarIT2_EEPKiS8_PKS5_iiSA_S6_PS5_21rocsparse_index_base_b,comdat
.Lfunc_end97:
	.size	_ZN9rocsparseL22gebsrmvn_mxn_16_kernelILj60ELj12ELj4E21rocsparse_complex_numIfEEEvi20rocsparse_direction_NS_24const_host_device_scalarIT2_EEPKiS8_PKS5_iiSA_S6_PS5_21rocsparse_index_base_b, .Lfunc_end97-_ZN9rocsparseL22gebsrmvn_mxn_16_kernelILj60ELj12ELj4E21rocsparse_complex_numIfEEEvi20rocsparse_direction_NS_24const_host_device_scalarIT2_EEPKiS8_PKS5_iiSA_S6_PS5_21rocsparse_index_base_b
                                        ; -- End function
	.set _ZN9rocsparseL22gebsrmvn_mxn_16_kernelILj60ELj12ELj4E21rocsparse_complex_numIfEEEvi20rocsparse_direction_NS_24const_host_device_scalarIT2_EEPKiS8_PKS5_iiSA_S6_PS5_21rocsparse_index_base_b.num_vgpr, 17
	.set _ZN9rocsparseL22gebsrmvn_mxn_16_kernelILj60ELj12ELj4E21rocsparse_complex_numIfEEEvi20rocsparse_direction_NS_24const_host_device_scalarIT2_EEPKiS8_PKS5_iiSA_S6_PS5_21rocsparse_index_base_b.num_agpr, 0
	.set _ZN9rocsparseL22gebsrmvn_mxn_16_kernelILj60ELj12ELj4E21rocsparse_complex_numIfEEEvi20rocsparse_direction_NS_24const_host_device_scalarIT2_EEPKiS8_PKS5_iiSA_S6_PS5_21rocsparse_index_base_b.numbered_sgpr, 18
	.set _ZN9rocsparseL22gebsrmvn_mxn_16_kernelILj60ELj12ELj4E21rocsparse_complex_numIfEEEvi20rocsparse_direction_NS_24const_host_device_scalarIT2_EEPKiS8_PKS5_iiSA_S6_PS5_21rocsparse_index_base_b.num_named_barrier, 0
	.set _ZN9rocsparseL22gebsrmvn_mxn_16_kernelILj60ELj12ELj4E21rocsparse_complex_numIfEEEvi20rocsparse_direction_NS_24const_host_device_scalarIT2_EEPKiS8_PKS5_iiSA_S6_PS5_21rocsparse_index_base_b.private_seg_size, 0
	.set _ZN9rocsparseL22gebsrmvn_mxn_16_kernelILj60ELj12ELj4E21rocsparse_complex_numIfEEEvi20rocsparse_direction_NS_24const_host_device_scalarIT2_EEPKiS8_PKS5_iiSA_S6_PS5_21rocsparse_index_base_b.uses_vcc, 1
	.set _ZN9rocsparseL22gebsrmvn_mxn_16_kernelILj60ELj12ELj4E21rocsparse_complex_numIfEEEvi20rocsparse_direction_NS_24const_host_device_scalarIT2_EEPKiS8_PKS5_iiSA_S6_PS5_21rocsparse_index_base_b.uses_flat_scratch, 0
	.set _ZN9rocsparseL22gebsrmvn_mxn_16_kernelILj60ELj12ELj4E21rocsparse_complex_numIfEEEvi20rocsparse_direction_NS_24const_host_device_scalarIT2_EEPKiS8_PKS5_iiSA_S6_PS5_21rocsparse_index_base_b.has_dyn_sized_stack, 0
	.set _ZN9rocsparseL22gebsrmvn_mxn_16_kernelILj60ELj12ELj4E21rocsparse_complex_numIfEEEvi20rocsparse_direction_NS_24const_host_device_scalarIT2_EEPKiS8_PKS5_iiSA_S6_PS5_21rocsparse_index_base_b.has_recursion, 0
	.set _ZN9rocsparseL22gebsrmvn_mxn_16_kernelILj60ELj12ELj4E21rocsparse_complex_numIfEEEvi20rocsparse_direction_NS_24const_host_device_scalarIT2_EEPKiS8_PKS5_iiSA_S6_PS5_21rocsparse_index_base_b.has_indirect_call, 0
	.section	.AMDGPU.csdata,"",@progbits
; Kernel info:
; codeLenInByte = 988
; TotalNumSgprs: 22
; NumVgprs: 17
; ScratchSize: 0
; MemoryBound: 0
; FloatMode: 240
; IeeeMode: 1
; LDSByteSize: 384 bytes/workgroup (compile time only)
; SGPRBlocks: 2
; VGPRBlocks: 4
; NumSGPRsForWavesPerEU: 22
; NumVGPRsForWavesPerEU: 17
; Occupancy: 10
; WaveLimiterHint : 1
; COMPUTE_PGM_RSRC2:SCRATCH_EN: 0
; COMPUTE_PGM_RSRC2:USER_SGPR: 6
; COMPUTE_PGM_RSRC2:TRAP_HANDLER: 0
; COMPUTE_PGM_RSRC2:TGID_X_EN: 1
; COMPUTE_PGM_RSRC2:TGID_Y_EN: 0
; COMPUTE_PGM_RSRC2:TGID_Z_EN: 0
; COMPUTE_PGM_RSRC2:TIDIG_COMP_CNT: 0
	.section	.text._ZN9rocsparseL22gebsrmvn_mxn_16_kernelILj60ELj12ELj5E21rocsparse_complex_numIfEEEvi20rocsparse_direction_NS_24const_host_device_scalarIT2_EEPKiS8_PKS5_iiSA_S6_PS5_21rocsparse_index_base_b,"axG",@progbits,_ZN9rocsparseL22gebsrmvn_mxn_16_kernelILj60ELj12ELj5E21rocsparse_complex_numIfEEEvi20rocsparse_direction_NS_24const_host_device_scalarIT2_EEPKiS8_PKS5_iiSA_S6_PS5_21rocsparse_index_base_b,comdat
	.globl	_ZN9rocsparseL22gebsrmvn_mxn_16_kernelILj60ELj12ELj5E21rocsparse_complex_numIfEEEvi20rocsparse_direction_NS_24const_host_device_scalarIT2_EEPKiS8_PKS5_iiSA_S6_PS5_21rocsparse_index_base_b ; -- Begin function _ZN9rocsparseL22gebsrmvn_mxn_16_kernelILj60ELj12ELj5E21rocsparse_complex_numIfEEEvi20rocsparse_direction_NS_24const_host_device_scalarIT2_EEPKiS8_PKS5_iiSA_S6_PS5_21rocsparse_index_base_b
	.p2align	8
	.type	_ZN9rocsparseL22gebsrmvn_mxn_16_kernelILj60ELj12ELj5E21rocsparse_complex_numIfEEEvi20rocsparse_direction_NS_24const_host_device_scalarIT2_EEPKiS8_PKS5_iiSA_S6_PS5_21rocsparse_index_base_b,@function
_ZN9rocsparseL22gebsrmvn_mxn_16_kernelILj60ELj12ELj5E21rocsparse_complex_numIfEEEvi20rocsparse_direction_NS_24const_host_device_scalarIT2_EEPKiS8_PKS5_iiSA_S6_PS5_21rocsparse_index_base_b: ; @_ZN9rocsparseL22gebsrmvn_mxn_16_kernelILj60ELj12ELj5E21rocsparse_complex_numIfEEEvi20rocsparse_direction_NS_24const_host_device_scalarIT2_EEPKiS8_PKS5_iiSA_S6_PS5_21rocsparse_index_base_b
; %bb.0:
	s_load_dwordx2 s[0:1], s[4:5], 0x8
	s_load_dwordx2 s[2:3], s[4:5], 0x38
	;; [unrolled: 1-line block ×3, first 2 shown]
	s_add_u32 s7, s4, 8
	s_addc_u32 s8, s5, 0
	s_add_u32 s9, s4, 56
	s_addc_u32 s12, s5, 0
	s_waitcnt lgkmcnt(0)
	s_bitcmp1_b32 s11, 0
	s_cselect_b32 s1, s8, s1
	s_cselect_b32 s0, s7, s0
	v_mov_b32_e32 v1, s0
	v_mov_b32_e32 v2, s1
	flat_load_dwordx2 v[3:4], v[1:2]
	s_cselect_b32 s0, s12, s3
	s_cselect_b32 s1, s9, s2
	v_mov_b32_e32 v1, s1
	v_mov_b32_e32 v2, s0
	flat_load_dwordx2 v[1:2], v[1:2]
	s_waitcnt vmcnt(0) lgkmcnt(0)
	v_cmp_eq_f32_e32 vcc, 0, v3
	v_cmp_eq_f32_e64 s[0:1], 0, v4
	s_and_b64 s[8:9], vcc, s[0:1]
	s_mov_b64 s[0:1], -1
	s_and_saveexec_b64 s[2:3], s[8:9]
; %bb.1:
	v_cmp_neq_f32_e32 vcc, 1.0, v1
	v_cmp_neq_f32_e64 s[0:1], 0, v2
	s_or_b64 s[0:1], vcc, s[0:1]
	s_orn2_b64 s[0:1], s[0:1], exec
; %bb.2:
	s_or_b64 exec, exec, s[2:3]
	s_and_saveexec_b64 s[2:3], s[0:1]
	s_cbranch_execz .LBB98_35
; %bb.3:
	s_load_dwordx2 s[0:1], s[4:5], 0x10
	s_load_dword s2, s[4:5], 0x4
	v_mul_u32_u24_e32 v6, 0x3334, v0
	v_mov_b32_e32 v5, 5
	v_mul_lo_u16_sdwa v6, v6, v5 dst_sel:DWORD dst_unused:UNUSED_PAD src0_sel:WORD_1 src1_sel:DWORD
	v_sub_u16_e32 v12, v0, v6
	s_waitcnt lgkmcnt(0)
	s_cmp_lg_u32 s2, 1
	s_cselect_b64 s[12:13], -1, 0
	s_and_b64 vcc, exec, s[12:13]
	v_mov_b32_e32 v7, v12
	s_cbranch_vccnz .LBB98_5
; %bb.4:
	s_movk_i32 s2, 0x1556
	v_mul_u32_u24_sdwa v6, v0, s2 dst_sel:DWORD dst_unused:UNUSED_PAD src0_sel:WORD_0 src1_sel:DWORD
	v_mov_b32_e32 v7, 52
	v_mul_lo_u16_sdwa v7, v6, v7 dst_sel:DWORD dst_unused:UNUSED_PAD src0_sel:WORD_1 src1_sel:DWORD
	v_mul_lo_u16_sdwa v5, v7, v5 dst_sel:DWORD dst_unused:UNUSED_PAD src0_sel:BYTE_1 src1_sel:DWORD
	v_sub_u16_sdwa v5, v6, v5 dst_sel:DWORD dst_unused:UNUSED_PAD src0_sel:WORD_1 src1_sel:DWORD
	v_and_b32_e32 v7, 0xff, v5
.LBB98_5:
	s_ashr_i32 s7, s6, 31
	s_lshl_b64 s[2:3], s[6:7], 2
	s_add_u32 s0, s0, s2
	s_addc_u32 s1, s1, s3
	s_load_dwordx2 s[16:17], s[0:1], 0x0
	s_load_dwordx2 s[8:9], s[4:5], 0x40
	v_mov_b32_e32 v6, 0
	v_mov_b32_e32 v5, 0
	s_waitcnt lgkmcnt(0)
	s_cmp_ge_i32 s16, s17
	s_cbranch_scc1 .LBB98_10
; %bb.6:
	s_load_dwordx4 s[0:3], s[4:5], 0x18
	s_load_dwordx2 s[14:15], s[4:5], 0x30
	v_mad_u64_u32 v[5:6], s[4:5], s16, 60, v[0:1]
	s_movk_i32 s4, 0x445
	v_mul_u32_u24_sdwa v13, v0, s4 dst_sel:DWORD dst_unused:UNUSED_PAD src0_sel:WORD_0 src1_sel:DWORD
	s_mul_i32 s4, s10, 60
	v_mov_b32_e32 v9, 0
	s_sub_i32 s7, s17, s10
	s_sub_i32 s11, s16, s10
	v_subrev_u32_e32 v8, s4, v5
	v_mov_b32_e32 v6, v9
	v_mov_b32_e32 v5, v9
	s_branch .LBB98_8
.LBB98_7:                               ;   in Loop: Header=BB98_8 Depth=1
	s_or_b64 exec, exec, s[4:5]
	s_add_i32 s11, s11, 1
	s_cmp_ge_i32 s11, s7
	v_add_u32_e32 v8, 60, v8
	s_cbranch_scc1 .LBB98_10
.LBB98_8:                               ; =>This Inner Loop Header: Depth=1
	v_add_u32_sdwa v10, v13, s11 dst_sel:DWORD dst_unused:UNUSED_PAD src0_sel:WORD_1 src1_sel:DWORD
	v_cmp_gt_i32_e32 vcc, s7, v10
	s_and_saveexec_b64 s[4:5], vcc
	s_cbranch_execz .LBB98_7
; %bb.9:                                ;   in Loop: Header=BB98_8 Depth=1
	v_ashrrev_i32_e32 v11, 31, v10
	v_lshlrev_b64 v[10:11], 2, v[10:11]
	s_waitcnt lgkmcnt(0)
	v_mov_b32_e32 v14, s1
	v_add_co_u32_e32 v10, vcc, s0, v10
	v_addc_co_u32_e32 v11, vcc, v14, v11, vcc
	global_load_dword v14, v[10:11], off
	v_lshlrev_b64 v[10:11], 3, v[8:9]
	v_mov_b32_e32 v16, s3
	v_add_co_u32_e32 v10, vcc, s2, v10
	v_addc_co_u32_e32 v11, vcc, v16, v11, vcc
	v_mov_b32_e32 v17, s15
	global_load_dwordx2 v[10:11], v[10:11], off
	s_waitcnt vmcnt(1)
	v_subrev_u32_e32 v14, s10, v14
	v_mad_u64_u32 v[14:15], s[16:17], v14, 5, v[7:8]
	v_ashrrev_i32_e32 v15, 31, v14
	v_lshlrev_b64 v[14:15], 3, v[14:15]
	v_add_co_u32_e32 v14, vcc, s14, v14
	v_addc_co_u32_e32 v15, vcc, v17, v15, vcc
	global_load_dwordx2 v[14:15], v[14:15], off
	s_waitcnt vmcnt(0)
	v_fmac_f32_e32 v5, v10, v14
	v_fmac_f32_e32 v6, v11, v14
	v_fma_f32 v5, -v11, v15, v5
	v_fmac_f32_e32 v6, v10, v15
	s_branch .LBB98_7
.LBB98_10:
	v_lshlrev_b32_e32 v9, 3, v0
	s_and_b64 vcc, exec, s[12:13]
	ds_write_b64 v9, v[5:6]
	s_waitcnt lgkmcnt(0)
	; wave barrier
	s_cbranch_vccz .LBB98_20
; %bb.11:
	v_cmp_eq_u16_e32 vcc, 0, v12
	s_and_saveexec_b64 s[0:1], vcc
	s_cbranch_execz .LBB98_13
; %bb.12:
	ds_read2_b64 v[13:16], v9 offset1:4
	s_waitcnt lgkmcnt(0)
	v_add_f32_e32 v7, v15, v13
	v_add_f32_e32 v8, v16, v14
	ds_write_b64 v9, v[7:8]
.LBB98_13:
	s_or_b64 exec, exec, s[0:1]
	v_cmp_gt_u16_e64 s[0:1], 2, v12
	s_waitcnt lgkmcnt(0)
	; wave barrier
	s_and_saveexec_b64 s[2:3], s[0:1]
	s_cbranch_execz .LBB98_15
; %bb.14:
	ds_read2_b64 v[10:13], v9 offset1:2
	s_waitcnt lgkmcnt(0)
	v_add_f32_e32 v7, v12, v10
	v_add_f32_e32 v8, v13, v11
	ds_write_b64 v9, v[7:8]
.LBB98_15:
	s_or_b64 exec, exec, s[2:3]
	s_waitcnt lgkmcnt(0)
	; wave barrier
	s_and_saveexec_b64 s[0:1], vcc
	s_cbranch_execz .LBB98_17
; %bb.16:
	ds_read2_b64 v[10:13], v9 offset1:1
	s_waitcnt lgkmcnt(0)
	v_add_f32_e32 v7, v12, v10
	v_add_f32_e32 v8, v13, v11
	ds_write_b64 v9, v[7:8]
.LBB98_17:
	s_or_b64 exec, exec, s[0:1]
	v_cmp_gt_u32_e32 vcc, 12, v0
	v_mov_b32_e32 v8, v6
	v_mov_b32_e32 v7, v5
	s_waitcnt lgkmcnt(0)
	; wave barrier
	s_and_saveexec_b64 s[0:1], vcc
; %bb.18:
	v_lshl_add_u32 v7, v0, 5, v9
	ds_read_b64 v[7:8], v7
; %bb.19:
	s_or_b64 exec, exec, s[0:1]
	v_cmp_gt_u32_e64 s[0:1], 12, v0
	s_branch .LBB98_30
.LBB98_20:
                                        ; implicit-def: $vgpr8
	v_cmp_gt_u32_e64 s[0:1], 12, v0
	s_cbranch_execz .LBB98_30
; %bb.21:
	v_cmp_lt_u32_e32 vcc, 11, v0
	s_and_saveexec_b64 s[2:3], s[0:1]
	s_cbranch_execz .LBB98_23
; %bb.22:
	ds_read2_b64 v[10:13], v9 offset1:48
	s_waitcnt lgkmcnt(0)
	v_add_f32_e32 v7, v12, v10
	v_add_f32_e32 v8, v13, v11
	ds_write_b64 v9, v[7:8]
.LBB98_23:
	s_or_b64 exec, exec, s[2:3]
	v_cmp_gt_u32_e64 s[0:1], 24, v0
	s_waitcnt lgkmcnt(0)
	; wave barrier
	s_and_saveexec_b64 s[2:3], s[0:1]
	s_cbranch_execz .LBB98_25
; %bb.24:
	ds_read2_b64 v[10:13], v9 offset1:24
	s_waitcnt lgkmcnt(0)
	v_add_f32_e32 v7, v12, v10
	v_add_f32_e32 v8, v13, v11
	ds_write_b64 v9, v[7:8]
.LBB98_25:
	s_or_b64 exec, exec, s[2:3]
	s_waitcnt lgkmcnt(0)
	s_and_saveexec_b64 s[0:1], vcc
	s_xor_b64 s[0:1], exec, s[0:1]
; %bb.26:
                                        ; implicit-def: $vgpr9
; %bb.27:
	s_andn2_saveexec_b64 s[0:1], s[0:1]
	s_cbranch_execz .LBB98_29
; %bb.28:
	ds_read2_b64 v[5:8], v9 offset1:12
	s_waitcnt lgkmcnt(0)
	v_add_f32_e32 v5, v7, v5
	v_add_f32_e32 v6, v8, v6
	ds_write_b64 v9, v[5:6]
	s_waitcnt lgkmcnt(0)
	ds_read_b64 v[5:6], v9
.LBB98_29:
	s_or_b64 exec, exec, s[0:1]
	s_waitcnt lgkmcnt(0)
	v_mov_b32_e32 v8, v6
	v_mov_b32_e32 v7, v5
.LBB98_30:
	v_cmp_gt_u32_e32 vcc, 12, v0
	s_and_b64 exec, exec, vcc
	s_cbranch_execz .LBB98_35
; %bb.31:
	v_cmp_eq_f32_e32 vcc, 0, v1
	v_cmp_eq_f32_e64 s[0:1], 0, v2
	s_waitcnt lgkmcnt(0)
	v_mul_f32_e64 v5, v8, -v4
	v_mul_f32_e32 v6, v3, v8
	s_and_b64 s[0:1], vcc, s[0:1]
	v_fmac_f32_e32 v5, v3, v7
	v_fmac_f32_e32 v6, v4, v7
	s_and_saveexec_b64 s[2:3], s[0:1]
	s_xor_b64 s[0:1], exec, s[2:3]
	s_cbranch_execz .LBB98_33
; %bb.32:
	v_mad_u64_u32 v[0:1], s[2:3], s6, 12, v[0:1]
	v_mov_b32_e32 v1, 0
	v_mov_b32_e32 v2, s9
	v_lshlrev_b64 v[0:1], 3, v[0:1]
	v_add_co_u32_e32 v0, vcc, s8, v0
	v_addc_co_u32_e32 v1, vcc, v2, v1, vcc
	global_store_dwordx2 v[0:1], v[5:6], off
                                        ; implicit-def: $vgpr0
                                        ; implicit-def: $vgpr1_vgpr2
                                        ; implicit-def: $vgpr5
.LBB98_33:
	s_andn2_saveexec_b64 s[0:1], s[0:1]
	s_cbranch_execz .LBB98_35
; %bb.34:
	v_mad_u64_u32 v[3:4], s[0:1], s6, 12, v[0:1]
	v_mov_b32_e32 v4, 0
	v_mov_b32_e32 v0, s9
	v_lshlrev_b64 v[3:4], 3, v[3:4]
	v_add_co_u32_e32 v3, vcc, s8, v3
	v_addc_co_u32_e32 v4, vcc, v0, v4, vcc
	global_load_dwordx2 v[7:8], v[3:4], off
	s_waitcnt vmcnt(0)
	v_fmac_f32_e32 v5, v1, v7
	v_fmac_f32_e32 v6, v2, v7
	v_fma_f32 v5, -v2, v8, v5
	v_fmac_f32_e32 v6, v1, v8
	global_store_dwordx2 v[3:4], v[5:6], off
.LBB98_35:
	s_endpgm
	.section	.rodata,"a",@progbits
	.p2align	6, 0x0
	.amdhsa_kernel _ZN9rocsparseL22gebsrmvn_mxn_16_kernelILj60ELj12ELj5E21rocsparse_complex_numIfEEEvi20rocsparse_direction_NS_24const_host_device_scalarIT2_EEPKiS8_PKS5_iiSA_S6_PS5_21rocsparse_index_base_b
		.amdhsa_group_segment_fixed_size 480
		.amdhsa_private_segment_fixed_size 0
		.amdhsa_kernarg_size 80
		.amdhsa_user_sgpr_count 6
		.amdhsa_user_sgpr_private_segment_buffer 1
		.amdhsa_user_sgpr_dispatch_ptr 0
		.amdhsa_user_sgpr_queue_ptr 0
		.amdhsa_user_sgpr_kernarg_segment_ptr 1
		.amdhsa_user_sgpr_dispatch_id 0
		.amdhsa_user_sgpr_flat_scratch_init 0
		.amdhsa_user_sgpr_private_segment_size 0
		.amdhsa_uses_dynamic_stack 0
		.amdhsa_system_sgpr_private_segment_wavefront_offset 0
		.amdhsa_system_sgpr_workgroup_id_x 1
		.amdhsa_system_sgpr_workgroup_id_y 0
		.amdhsa_system_sgpr_workgroup_id_z 0
		.amdhsa_system_sgpr_workgroup_info 0
		.amdhsa_system_vgpr_workitem_id 0
		.amdhsa_next_free_vgpr 18
		.amdhsa_next_free_sgpr 18
		.amdhsa_reserve_vcc 1
		.amdhsa_reserve_flat_scratch 0
		.amdhsa_float_round_mode_32 0
		.amdhsa_float_round_mode_16_64 0
		.amdhsa_float_denorm_mode_32 3
		.amdhsa_float_denorm_mode_16_64 3
		.amdhsa_dx10_clamp 1
		.amdhsa_ieee_mode 1
		.amdhsa_fp16_overflow 0
		.amdhsa_exception_fp_ieee_invalid_op 0
		.amdhsa_exception_fp_denorm_src 0
		.amdhsa_exception_fp_ieee_div_zero 0
		.amdhsa_exception_fp_ieee_overflow 0
		.amdhsa_exception_fp_ieee_underflow 0
		.amdhsa_exception_fp_ieee_inexact 0
		.amdhsa_exception_int_div_zero 0
	.end_amdhsa_kernel
	.section	.text._ZN9rocsparseL22gebsrmvn_mxn_16_kernelILj60ELj12ELj5E21rocsparse_complex_numIfEEEvi20rocsparse_direction_NS_24const_host_device_scalarIT2_EEPKiS8_PKS5_iiSA_S6_PS5_21rocsparse_index_base_b,"axG",@progbits,_ZN9rocsparseL22gebsrmvn_mxn_16_kernelILj60ELj12ELj5E21rocsparse_complex_numIfEEEvi20rocsparse_direction_NS_24const_host_device_scalarIT2_EEPKiS8_PKS5_iiSA_S6_PS5_21rocsparse_index_base_b,comdat
.Lfunc_end98:
	.size	_ZN9rocsparseL22gebsrmvn_mxn_16_kernelILj60ELj12ELj5E21rocsparse_complex_numIfEEEvi20rocsparse_direction_NS_24const_host_device_scalarIT2_EEPKiS8_PKS5_iiSA_S6_PS5_21rocsparse_index_base_b, .Lfunc_end98-_ZN9rocsparseL22gebsrmvn_mxn_16_kernelILj60ELj12ELj5E21rocsparse_complex_numIfEEEvi20rocsparse_direction_NS_24const_host_device_scalarIT2_EEPKiS8_PKS5_iiSA_S6_PS5_21rocsparse_index_base_b
                                        ; -- End function
	.set _ZN9rocsparseL22gebsrmvn_mxn_16_kernelILj60ELj12ELj5E21rocsparse_complex_numIfEEEvi20rocsparse_direction_NS_24const_host_device_scalarIT2_EEPKiS8_PKS5_iiSA_S6_PS5_21rocsparse_index_base_b.num_vgpr, 18
	.set _ZN9rocsparseL22gebsrmvn_mxn_16_kernelILj60ELj12ELj5E21rocsparse_complex_numIfEEEvi20rocsparse_direction_NS_24const_host_device_scalarIT2_EEPKiS8_PKS5_iiSA_S6_PS5_21rocsparse_index_base_b.num_agpr, 0
	.set _ZN9rocsparseL22gebsrmvn_mxn_16_kernelILj60ELj12ELj5E21rocsparse_complex_numIfEEEvi20rocsparse_direction_NS_24const_host_device_scalarIT2_EEPKiS8_PKS5_iiSA_S6_PS5_21rocsparse_index_base_b.numbered_sgpr, 18
	.set _ZN9rocsparseL22gebsrmvn_mxn_16_kernelILj60ELj12ELj5E21rocsparse_complex_numIfEEEvi20rocsparse_direction_NS_24const_host_device_scalarIT2_EEPKiS8_PKS5_iiSA_S6_PS5_21rocsparse_index_base_b.num_named_barrier, 0
	.set _ZN9rocsparseL22gebsrmvn_mxn_16_kernelILj60ELj12ELj5E21rocsparse_complex_numIfEEEvi20rocsparse_direction_NS_24const_host_device_scalarIT2_EEPKiS8_PKS5_iiSA_S6_PS5_21rocsparse_index_base_b.private_seg_size, 0
	.set _ZN9rocsparseL22gebsrmvn_mxn_16_kernelILj60ELj12ELj5E21rocsparse_complex_numIfEEEvi20rocsparse_direction_NS_24const_host_device_scalarIT2_EEPKiS8_PKS5_iiSA_S6_PS5_21rocsparse_index_base_b.uses_vcc, 1
	.set _ZN9rocsparseL22gebsrmvn_mxn_16_kernelILj60ELj12ELj5E21rocsparse_complex_numIfEEEvi20rocsparse_direction_NS_24const_host_device_scalarIT2_EEPKiS8_PKS5_iiSA_S6_PS5_21rocsparse_index_base_b.uses_flat_scratch, 0
	.set _ZN9rocsparseL22gebsrmvn_mxn_16_kernelILj60ELj12ELj5E21rocsparse_complex_numIfEEEvi20rocsparse_direction_NS_24const_host_device_scalarIT2_EEPKiS8_PKS5_iiSA_S6_PS5_21rocsparse_index_base_b.has_dyn_sized_stack, 0
	.set _ZN9rocsparseL22gebsrmvn_mxn_16_kernelILj60ELj12ELj5E21rocsparse_complex_numIfEEEvi20rocsparse_direction_NS_24const_host_device_scalarIT2_EEPKiS8_PKS5_iiSA_S6_PS5_21rocsparse_index_base_b.has_recursion, 0
	.set _ZN9rocsparseL22gebsrmvn_mxn_16_kernelILj60ELj12ELj5E21rocsparse_complex_numIfEEEvi20rocsparse_direction_NS_24const_host_device_scalarIT2_EEPKiS8_PKS5_iiSA_S6_PS5_21rocsparse_index_base_b.has_indirect_call, 0
	.section	.AMDGPU.csdata,"",@progbits
; Kernel info:
; codeLenInByte = 1156
; TotalNumSgprs: 22
; NumVgprs: 18
; ScratchSize: 0
; MemoryBound: 0
; FloatMode: 240
; IeeeMode: 1
; LDSByteSize: 480 bytes/workgroup (compile time only)
; SGPRBlocks: 2
; VGPRBlocks: 4
; NumSGPRsForWavesPerEU: 22
; NumVGPRsForWavesPerEU: 18
; Occupancy: 10
; WaveLimiterHint : 1
; COMPUTE_PGM_RSRC2:SCRATCH_EN: 0
; COMPUTE_PGM_RSRC2:USER_SGPR: 6
; COMPUTE_PGM_RSRC2:TRAP_HANDLER: 0
; COMPUTE_PGM_RSRC2:TGID_X_EN: 1
; COMPUTE_PGM_RSRC2:TGID_Y_EN: 0
; COMPUTE_PGM_RSRC2:TGID_Z_EN: 0
; COMPUTE_PGM_RSRC2:TIDIG_COMP_CNT: 0
	.section	.text._ZN9rocsparseL22gebsrmvn_mxn_16_kernelILj72ELj12ELj6E21rocsparse_complex_numIfEEEvi20rocsparse_direction_NS_24const_host_device_scalarIT2_EEPKiS8_PKS5_iiSA_S6_PS5_21rocsparse_index_base_b,"axG",@progbits,_ZN9rocsparseL22gebsrmvn_mxn_16_kernelILj72ELj12ELj6E21rocsparse_complex_numIfEEEvi20rocsparse_direction_NS_24const_host_device_scalarIT2_EEPKiS8_PKS5_iiSA_S6_PS5_21rocsparse_index_base_b,comdat
	.globl	_ZN9rocsparseL22gebsrmvn_mxn_16_kernelILj72ELj12ELj6E21rocsparse_complex_numIfEEEvi20rocsparse_direction_NS_24const_host_device_scalarIT2_EEPKiS8_PKS5_iiSA_S6_PS5_21rocsparse_index_base_b ; -- Begin function _ZN9rocsparseL22gebsrmvn_mxn_16_kernelILj72ELj12ELj6E21rocsparse_complex_numIfEEEvi20rocsparse_direction_NS_24const_host_device_scalarIT2_EEPKiS8_PKS5_iiSA_S6_PS5_21rocsparse_index_base_b
	.p2align	8
	.type	_ZN9rocsparseL22gebsrmvn_mxn_16_kernelILj72ELj12ELj6E21rocsparse_complex_numIfEEEvi20rocsparse_direction_NS_24const_host_device_scalarIT2_EEPKiS8_PKS5_iiSA_S6_PS5_21rocsparse_index_base_b,@function
_ZN9rocsparseL22gebsrmvn_mxn_16_kernelILj72ELj12ELj6E21rocsparse_complex_numIfEEEvi20rocsparse_direction_NS_24const_host_device_scalarIT2_EEPKiS8_PKS5_iiSA_S6_PS5_21rocsparse_index_base_b: ; @_ZN9rocsparseL22gebsrmvn_mxn_16_kernelILj72ELj12ELj6E21rocsparse_complex_numIfEEEvi20rocsparse_direction_NS_24const_host_device_scalarIT2_EEPKiS8_PKS5_iiSA_S6_PS5_21rocsparse_index_base_b
; %bb.0:
	s_load_dwordx2 s[0:1], s[4:5], 0x8
	s_load_dwordx2 s[2:3], s[4:5], 0x38
	;; [unrolled: 1-line block ×3, first 2 shown]
	s_add_u32 s7, s4, 8
	s_addc_u32 s8, s5, 0
	s_add_u32 s9, s4, 56
	s_addc_u32 s12, s5, 0
	s_waitcnt lgkmcnt(0)
	s_bitcmp1_b32 s11, 0
	s_cselect_b32 s1, s8, s1
	s_cselect_b32 s0, s7, s0
	v_mov_b32_e32 v1, s0
	v_mov_b32_e32 v2, s1
	flat_load_dwordx2 v[3:4], v[1:2]
	s_cselect_b32 s0, s12, s3
	s_cselect_b32 s1, s9, s2
	v_mov_b32_e32 v1, s1
	v_mov_b32_e32 v2, s0
	flat_load_dwordx2 v[1:2], v[1:2]
	s_waitcnt vmcnt(0) lgkmcnt(0)
	v_cmp_eq_f32_e32 vcc, 0, v3
	v_cmp_eq_f32_e64 s[0:1], 0, v4
	s_and_b64 s[8:9], vcc, s[0:1]
	s_mov_b64 s[0:1], -1
	s_and_saveexec_b64 s[2:3], s[8:9]
; %bb.1:
	v_cmp_neq_f32_e32 vcc, 1.0, v1
	v_cmp_neq_f32_e64 s[0:1], 0, v2
	s_or_b64 s[0:1], vcc, s[0:1]
	s_orn2_b64 s[0:1], s[0:1], exec
; %bb.2:
	s_or_b64 exec, exec, s[2:3]
	s_and_saveexec_b64 s[2:3], s[0:1]
	s_cbranch_execz .LBB99_35
; %bb.3:
	s_load_dwordx2 s[0:1], s[4:5], 0x10
	s_load_dword s2, s[4:5], 0x4
	v_mul_u32_u24_e32 v6, 0x2aab, v0
	v_mov_b32_e32 v5, 6
	v_mul_lo_u16_sdwa v6, v6, v5 dst_sel:DWORD dst_unused:UNUSED_PAD src0_sel:WORD_1 src1_sel:DWORD
	v_sub_u16_e32 v12, v0, v6
	s_waitcnt lgkmcnt(0)
	s_cmp_lg_u32 s2, 1
	s_cselect_b64 s[12:13], -1, 0
	s_and_b64 vcc, exec, s[12:13]
	v_mov_b32_e32 v7, v12
	s_cbranch_vccnz .LBB99_5
; %bb.4:
	s_movk_i32 s2, 0x1556
	v_mul_u32_u24_sdwa v6, v0, s2 dst_sel:DWORD dst_unused:UNUSED_PAD src0_sel:WORD_0 src1_sel:DWORD
	v_mov_b32_e32 v7, 43
	v_mul_lo_u16_sdwa v7, v6, v7 dst_sel:DWORD dst_unused:UNUSED_PAD src0_sel:WORD_1 src1_sel:DWORD
	v_mul_lo_u16_sdwa v5, v7, v5 dst_sel:DWORD dst_unused:UNUSED_PAD src0_sel:BYTE_1 src1_sel:DWORD
	v_sub_u16_sdwa v5, v6, v5 dst_sel:DWORD dst_unused:UNUSED_PAD src0_sel:WORD_1 src1_sel:DWORD
	v_and_b32_e32 v7, 0xff, v5
.LBB99_5:
	s_ashr_i32 s7, s6, 31
	s_lshl_b64 s[2:3], s[6:7], 2
	s_add_u32 s0, s0, s2
	s_addc_u32 s1, s1, s3
	s_load_dwordx2 s[16:17], s[0:1], 0x0
	s_load_dwordx2 s[8:9], s[4:5], 0x40
	v_mov_b32_e32 v6, 0
	v_mov_b32_e32 v5, 0
	s_waitcnt lgkmcnt(0)
	s_cmp_ge_i32 s16, s17
	s_cbranch_scc1 .LBB99_10
; %bb.6:
	s_load_dwordx4 s[0:3], s[4:5], 0x18
	s_load_dwordx2 s[14:15], s[4:5], 0x30
	s_movk_i32 s4, 0x38f
	v_mul_u32_u24_sdwa v13, v0, s4 dst_sel:DWORD dst_unused:UNUSED_PAD src0_sel:WORD_0 src1_sel:DWORD
	s_mul_i32 s4, s16, 0x48
	v_add_u32_e32 v5, s4, v0
	s_mul_i32 s4, s10, 0x48
	v_mov_b32_e32 v9, 0
	s_sub_i32 s7, s17, s10
	s_sub_i32 s11, s16, s10
	v_subrev_u32_e32 v8, s4, v5
	v_mov_b32_e32 v6, v9
	v_mov_b32_e32 v5, v9
	s_branch .LBB99_8
.LBB99_7:                               ;   in Loop: Header=BB99_8 Depth=1
	s_or_b64 exec, exec, s[4:5]
	s_add_i32 s11, s11, 1
	s_cmp_ge_i32 s11, s7
	v_add_u32_e32 v8, 0x48, v8
	s_cbranch_scc1 .LBB99_10
.LBB99_8:                               ; =>This Inner Loop Header: Depth=1
	v_add_u32_sdwa v10, v13, s11 dst_sel:DWORD dst_unused:UNUSED_PAD src0_sel:WORD_1 src1_sel:DWORD
	v_cmp_gt_i32_e32 vcc, s7, v10
	s_and_saveexec_b64 s[4:5], vcc
	s_cbranch_execz .LBB99_7
; %bb.9:                                ;   in Loop: Header=BB99_8 Depth=1
	v_ashrrev_i32_e32 v11, 31, v10
	v_lshlrev_b64 v[10:11], 2, v[10:11]
	s_waitcnt lgkmcnt(0)
	v_mov_b32_e32 v14, s1
	v_add_co_u32_e32 v10, vcc, s0, v10
	v_addc_co_u32_e32 v11, vcc, v14, v11, vcc
	global_load_dword v14, v[10:11], off
	v_lshlrev_b64 v[10:11], 3, v[8:9]
	v_mov_b32_e32 v16, s3
	v_add_co_u32_e32 v10, vcc, s2, v10
	v_addc_co_u32_e32 v11, vcc, v16, v11, vcc
	v_mov_b32_e32 v17, s15
	global_load_dwordx2 v[10:11], v[10:11], off
	s_waitcnt vmcnt(1)
	v_subrev_u32_e32 v14, s10, v14
	v_mad_u64_u32 v[14:15], s[16:17], v14, 6, v[7:8]
	v_ashrrev_i32_e32 v15, 31, v14
	v_lshlrev_b64 v[14:15], 3, v[14:15]
	v_add_co_u32_e32 v14, vcc, s14, v14
	v_addc_co_u32_e32 v15, vcc, v17, v15, vcc
	global_load_dwordx2 v[14:15], v[14:15], off
	s_waitcnt vmcnt(0)
	v_fmac_f32_e32 v5, v10, v14
	v_fmac_f32_e32 v6, v11, v14
	v_fma_f32 v5, -v11, v15, v5
	v_fmac_f32_e32 v6, v10, v15
	s_branch .LBB99_7
.LBB99_10:
	v_lshlrev_b32_e32 v9, 3, v0
	s_and_b64 vcc, exec, s[12:13]
	ds_write_b64 v9, v[5:6]
	s_waitcnt lgkmcnt(0)
	s_barrier
	s_cbranch_vccz .LBB99_20
; %bb.11:
	v_cmp_gt_u16_e32 vcc, 2, v12
	s_and_saveexec_b64 s[0:1], vcc
	s_cbranch_execz .LBB99_13
; %bb.12:
	ds_read2_b64 v[13:16], v9 offset1:4
	s_waitcnt lgkmcnt(0)
	v_add_f32_e32 v7, v15, v13
	v_add_f32_e32 v8, v16, v14
	ds_write_b64 v9, v[7:8]
.LBB99_13:
	s_or_b64 exec, exec, s[0:1]
	s_waitcnt lgkmcnt(0)
	s_barrier
	s_and_saveexec_b64 s[0:1], vcc
	s_cbranch_execz .LBB99_15
; %bb.14:
	ds_read2_b64 v[13:16], v9 offset1:2
	s_waitcnt lgkmcnt(0)
	v_add_f32_e32 v7, v15, v13
	v_add_f32_e32 v8, v16, v14
	ds_write_b64 v9, v[7:8]
.LBB99_15:
	s_or_b64 exec, exec, s[0:1]
	v_cmp_eq_u16_e32 vcc, 0, v12
	s_waitcnt lgkmcnt(0)
	s_barrier
	s_and_saveexec_b64 s[0:1], vcc
	s_cbranch_execz .LBB99_17
; %bb.16:
	ds_read2_b64 v[10:13], v9 offset1:1
	s_waitcnt lgkmcnt(0)
	v_add_f32_e32 v7, v12, v10
	v_add_f32_e32 v8, v13, v11
	ds_write_b64 v9, v[7:8]
.LBB99_17:
	s_or_b64 exec, exec, s[0:1]
	v_cmp_gt_u32_e32 vcc, 12, v0
	v_mov_b32_e32 v8, v6
	v_mov_b32_e32 v7, v5
	s_waitcnt lgkmcnt(0)
	s_barrier
	s_and_saveexec_b64 s[0:1], vcc
; %bb.18:
	v_mad_u32_u24 v7, v0, 40, v9
	ds_read_b64 v[7:8], v7
; %bb.19:
	s_or_b64 exec, exec, s[0:1]
	s_branch .LBB99_30
.LBB99_20:
                                        ; implicit-def: $vgpr8
	s_cbranch_execz .LBB99_30
; %bb.21:
	v_cmp_gt_u32_e32 vcc, 24, v0
	s_and_saveexec_b64 s[0:1], vcc
	s_cbranch_execz .LBB99_23
; %bb.22:
	ds_read2_b64 v[10:13], v9 offset1:48
	s_waitcnt lgkmcnt(0)
	v_add_f32_e32 v7, v12, v10
	v_add_f32_e32 v8, v13, v11
	ds_write_b64 v9, v[7:8]
.LBB99_23:
	s_or_b64 exec, exec, s[0:1]
	s_waitcnt lgkmcnt(0)
	s_barrier
	s_and_saveexec_b64 s[0:1], vcc
	s_cbranch_execz .LBB99_25
; %bb.24:
	ds_read2_b64 v[10:13], v9 offset1:24
	s_waitcnt lgkmcnt(0)
	v_add_f32_e32 v7, v12, v10
	v_add_f32_e32 v8, v13, v11
	ds_write_b64 v9, v[7:8]
.LBB99_25:
	s_or_b64 exec, exec, s[0:1]
	v_cmp_lt_u32_e32 vcc, 11, v0
	s_waitcnt lgkmcnt(0)
	s_and_saveexec_b64 s[0:1], vcc
	s_xor_b64 s[0:1], exec, s[0:1]
; %bb.26:
                                        ; implicit-def: $vgpr9
; %bb.27:
	s_andn2_saveexec_b64 s[0:1], s[0:1]
	s_cbranch_execz .LBB99_29
; %bb.28:
	ds_read2_b64 v[5:8], v9 offset1:12
	s_waitcnt lgkmcnt(0)
	v_add_f32_e32 v5, v7, v5
	v_add_f32_e32 v6, v8, v6
	ds_write_b64 v9, v[5:6]
	s_waitcnt lgkmcnt(0)
	ds_read_b64 v[5:6], v9
.LBB99_29:
	s_or_b64 exec, exec, s[0:1]
	s_waitcnt lgkmcnt(0)
	v_mov_b32_e32 v8, v6
	v_mov_b32_e32 v7, v5
.LBB99_30:
	v_cmp_gt_u32_e32 vcc, 12, v0
	s_and_b64 exec, exec, vcc
	s_cbranch_execz .LBB99_35
; %bb.31:
	v_cmp_eq_f32_e32 vcc, 0, v1
	v_cmp_eq_f32_e64 s[0:1], 0, v2
	s_waitcnt lgkmcnt(0)
	v_mul_f32_e64 v5, v8, -v4
	v_mul_f32_e32 v6, v3, v8
	s_and_b64 s[0:1], vcc, s[0:1]
	v_fmac_f32_e32 v5, v3, v7
	v_fmac_f32_e32 v6, v4, v7
	s_and_saveexec_b64 s[2:3], s[0:1]
	s_xor_b64 s[0:1], exec, s[2:3]
	s_cbranch_execz .LBB99_33
; %bb.32:
	v_mad_u64_u32 v[0:1], s[2:3], s6, 12, v[0:1]
	v_mov_b32_e32 v1, 0
	v_mov_b32_e32 v2, s9
	v_lshlrev_b64 v[0:1], 3, v[0:1]
	v_add_co_u32_e32 v0, vcc, s8, v0
	v_addc_co_u32_e32 v1, vcc, v2, v1, vcc
	global_store_dwordx2 v[0:1], v[5:6], off
                                        ; implicit-def: $vgpr0
                                        ; implicit-def: $vgpr1_vgpr2
                                        ; implicit-def: $vgpr5
.LBB99_33:
	s_andn2_saveexec_b64 s[0:1], s[0:1]
	s_cbranch_execz .LBB99_35
; %bb.34:
	v_mad_u64_u32 v[3:4], s[0:1], s6, 12, v[0:1]
	v_mov_b32_e32 v4, 0
	v_mov_b32_e32 v0, s9
	v_lshlrev_b64 v[3:4], 3, v[3:4]
	v_add_co_u32_e32 v3, vcc, s8, v3
	v_addc_co_u32_e32 v4, vcc, v0, v4, vcc
	global_load_dwordx2 v[7:8], v[3:4], off
	s_waitcnt vmcnt(0)
	v_fmac_f32_e32 v5, v1, v7
	v_fmac_f32_e32 v6, v2, v7
	v_fma_f32 v5, -v2, v8, v5
	v_fmac_f32_e32 v6, v1, v8
	global_store_dwordx2 v[3:4], v[5:6], off
.LBB99_35:
	s_endpgm
	.section	.rodata,"a",@progbits
	.p2align	6, 0x0
	.amdhsa_kernel _ZN9rocsparseL22gebsrmvn_mxn_16_kernelILj72ELj12ELj6E21rocsparse_complex_numIfEEEvi20rocsparse_direction_NS_24const_host_device_scalarIT2_EEPKiS8_PKS5_iiSA_S6_PS5_21rocsparse_index_base_b
		.amdhsa_group_segment_fixed_size 576
		.amdhsa_private_segment_fixed_size 0
		.amdhsa_kernarg_size 80
		.amdhsa_user_sgpr_count 6
		.amdhsa_user_sgpr_private_segment_buffer 1
		.amdhsa_user_sgpr_dispatch_ptr 0
		.amdhsa_user_sgpr_queue_ptr 0
		.amdhsa_user_sgpr_kernarg_segment_ptr 1
		.amdhsa_user_sgpr_dispatch_id 0
		.amdhsa_user_sgpr_flat_scratch_init 0
		.amdhsa_user_sgpr_private_segment_size 0
		.amdhsa_uses_dynamic_stack 0
		.amdhsa_system_sgpr_private_segment_wavefront_offset 0
		.amdhsa_system_sgpr_workgroup_id_x 1
		.amdhsa_system_sgpr_workgroup_id_y 0
		.amdhsa_system_sgpr_workgroup_id_z 0
		.amdhsa_system_sgpr_workgroup_info 0
		.amdhsa_system_vgpr_workitem_id 0
		.amdhsa_next_free_vgpr 18
		.amdhsa_next_free_sgpr 18
		.amdhsa_reserve_vcc 1
		.amdhsa_reserve_flat_scratch 0
		.amdhsa_float_round_mode_32 0
		.amdhsa_float_round_mode_16_64 0
		.amdhsa_float_denorm_mode_32 3
		.amdhsa_float_denorm_mode_16_64 3
		.amdhsa_dx10_clamp 1
		.amdhsa_ieee_mode 1
		.amdhsa_fp16_overflow 0
		.amdhsa_exception_fp_ieee_invalid_op 0
		.amdhsa_exception_fp_denorm_src 0
		.amdhsa_exception_fp_ieee_div_zero 0
		.amdhsa_exception_fp_ieee_overflow 0
		.amdhsa_exception_fp_ieee_underflow 0
		.amdhsa_exception_fp_ieee_inexact 0
		.amdhsa_exception_int_div_zero 0
	.end_amdhsa_kernel
	.section	.text._ZN9rocsparseL22gebsrmvn_mxn_16_kernelILj72ELj12ELj6E21rocsparse_complex_numIfEEEvi20rocsparse_direction_NS_24const_host_device_scalarIT2_EEPKiS8_PKS5_iiSA_S6_PS5_21rocsparse_index_base_b,"axG",@progbits,_ZN9rocsparseL22gebsrmvn_mxn_16_kernelILj72ELj12ELj6E21rocsparse_complex_numIfEEEvi20rocsparse_direction_NS_24const_host_device_scalarIT2_EEPKiS8_PKS5_iiSA_S6_PS5_21rocsparse_index_base_b,comdat
.Lfunc_end99:
	.size	_ZN9rocsparseL22gebsrmvn_mxn_16_kernelILj72ELj12ELj6E21rocsparse_complex_numIfEEEvi20rocsparse_direction_NS_24const_host_device_scalarIT2_EEPKiS8_PKS5_iiSA_S6_PS5_21rocsparse_index_base_b, .Lfunc_end99-_ZN9rocsparseL22gebsrmvn_mxn_16_kernelILj72ELj12ELj6E21rocsparse_complex_numIfEEEvi20rocsparse_direction_NS_24const_host_device_scalarIT2_EEPKiS8_PKS5_iiSA_S6_PS5_21rocsparse_index_base_b
                                        ; -- End function
	.set _ZN9rocsparseL22gebsrmvn_mxn_16_kernelILj72ELj12ELj6E21rocsparse_complex_numIfEEEvi20rocsparse_direction_NS_24const_host_device_scalarIT2_EEPKiS8_PKS5_iiSA_S6_PS5_21rocsparse_index_base_b.num_vgpr, 18
	.set _ZN9rocsparseL22gebsrmvn_mxn_16_kernelILj72ELj12ELj6E21rocsparse_complex_numIfEEEvi20rocsparse_direction_NS_24const_host_device_scalarIT2_EEPKiS8_PKS5_iiSA_S6_PS5_21rocsparse_index_base_b.num_agpr, 0
	.set _ZN9rocsparseL22gebsrmvn_mxn_16_kernelILj72ELj12ELj6E21rocsparse_complex_numIfEEEvi20rocsparse_direction_NS_24const_host_device_scalarIT2_EEPKiS8_PKS5_iiSA_S6_PS5_21rocsparse_index_base_b.numbered_sgpr, 18
	.set _ZN9rocsparseL22gebsrmvn_mxn_16_kernelILj72ELj12ELj6E21rocsparse_complex_numIfEEEvi20rocsparse_direction_NS_24const_host_device_scalarIT2_EEPKiS8_PKS5_iiSA_S6_PS5_21rocsparse_index_base_b.num_named_barrier, 0
	.set _ZN9rocsparseL22gebsrmvn_mxn_16_kernelILj72ELj12ELj6E21rocsparse_complex_numIfEEEvi20rocsparse_direction_NS_24const_host_device_scalarIT2_EEPKiS8_PKS5_iiSA_S6_PS5_21rocsparse_index_base_b.private_seg_size, 0
	.set _ZN9rocsparseL22gebsrmvn_mxn_16_kernelILj72ELj12ELj6E21rocsparse_complex_numIfEEEvi20rocsparse_direction_NS_24const_host_device_scalarIT2_EEPKiS8_PKS5_iiSA_S6_PS5_21rocsparse_index_base_b.uses_vcc, 1
	.set _ZN9rocsparseL22gebsrmvn_mxn_16_kernelILj72ELj12ELj6E21rocsparse_complex_numIfEEEvi20rocsparse_direction_NS_24const_host_device_scalarIT2_EEPKiS8_PKS5_iiSA_S6_PS5_21rocsparse_index_base_b.uses_flat_scratch, 0
	.set _ZN9rocsparseL22gebsrmvn_mxn_16_kernelILj72ELj12ELj6E21rocsparse_complex_numIfEEEvi20rocsparse_direction_NS_24const_host_device_scalarIT2_EEPKiS8_PKS5_iiSA_S6_PS5_21rocsparse_index_base_b.has_dyn_sized_stack, 0
	.set _ZN9rocsparseL22gebsrmvn_mxn_16_kernelILj72ELj12ELj6E21rocsparse_complex_numIfEEEvi20rocsparse_direction_NS_24const_host_device_scalarIT2_EEPKiS8_PKS5_iiSA_S6_PS5_21rocsparse_index_base_b.has_recursion, 0
	.set _ZN9rocsparseL22gebsrmvn_mxn_16_kernelILj72ELj12ELj6E21rocsparse_complex_numIfEEEvi20rocsparse_direction_NS_24const_host_device_scalarIT2_EEPKiS8_PKS5_iiSA_S6_PS5_21rocsparse_index_base_b.has_indirect_call, 0
	.section	.AMDGPU.csdata,"",@progbits
; Kernel info:
; codeLenInByte = 1164
; TotalNumSgprs: 22
; NumVgprs: 18
; ScratchSize: 0
; MemoryBound: 0
; FloatMode: 240
; IeeeMode: 1
; LDSByteSize: 576 bytes/workgroup (compile time only)
; SGPRBlocks: 2
; VGPRBlocks: 4
; NumSGPRsForWavesPerEU: 22
; NumVGPRsForWavesPerEU: 18
; Occupancy: 10
; WaveLimiterHint : 1
; COMPUTE_PGM_RSRC2:SCRATCH_EN: 0
; COMPUTE_PGM_RSRC2:USER_SGPR: 6
; COMPUTE_PGM_RSRC2:TRAP_HANDLER: 0
; COMPUTE_PGM_RSRC2:TGID_X_EN: 1
; COMPUTE_PGM_RSRC2:TGID_Y_EN: 0
; COMPUTE_PGM_RSRC2:TGID_Z_EN: 0
; COMPUTE_PGM_RSRC2:TIDIG_COMP_CNT: 0
	.section	.text._ZN9rocsparseL22gebsrmvn_mxn_16_kernelILj84ELj12ELj7E21rocsparse_complex_numIfEEEvi20rocsparse_direction_NS_24const_host_device_scalarIT2_EEPKiS8_PKS5_iiSA_S6_PS5_21rocsparse_index_base_b,"axG",@progbits,_ZN9rocsparseL22gebsrmvn_mxn_16_kernelILj84ELj12ELj7E21rocsparse_complex_numIfEEEvi20rocsparse_direction_NS_24const_host_device_scalarIT2_EEPKiS8_PKS5_iiSA_S6_PS5_21rocsparse_index_base_b,comdat
	.globl	_ZN9rocsparseL22gebsrmvn_mxn_16_kernelILj84ELj12ELj7E21rocsparse_complex_numIfEEEvi20rocsparse_direction_NS_24const_host_device_scalarIT2_EEPKiS8_PKS5_iiSA_S6_PS5_21rocsparse_index_base_b ; -- Begin function _ZN9rocsparseL22gebsrmvn_mxn_16_kernelILj84ELj12ELj7E21rocsparse_complex_numIfEEEvi20rocsparse_direction_NS_24const_host_device_scalarIT2_EEPKiS8_PKS5_iiSA_S6_PS5_21rocsparse_index_base_b
	.p2align	8
	.type	_ZN9rocsparseL22gebsrmvn_mxn_16_kernelILj84ELj12ELj7E21rocsparse_complex_numIfEEEvi20rocsparse_direction_NS_24const_host_device_scalarIT2_EEPKiS8_PKS5_iiSA_S6_PS5_21rocsparse_index_base_b,@function
_ZN9rocsparseL22gebsrmvn_mxn_16_kernelILj84ELj12ELj7E21rocsparse_complex_numIfEEEvi20rocsparse_direction_NS_24const_host_device_scalarIT2_EEPKiS8_PKS5_iiSA_S6_PS5_21rocsparse_index_base_b: ; @_ZN9rocsparseL22gebsrmvn_mxn_16_kernelILj84ELj12ELj7E21rocsparse_complex_numIfEEEvi20rocsparse_direction_NS_24const_host_device_scalarIT2_EEPKiS8_PKS5_iiSA_S6_PS5_21rocsparse_index_base_b
; %bb.0:
	s_load_dwordx2 s[0:1], s[4:5], 0x8
	s_load_dwordx2 s[2:3], s[4:5], 0x38
	;; [unrolled: 1-line block ×3, first 2 shown]
	s_add_u32 s7, s4, 8
	s_addc_u32 s8, s5, 0
	s_add_u32 s9, s4, 56
	s_addc_u32 s12, s5, 0
	s_waitcnt lgkmcnt(0)
	s_bitcmp1_b32 s11, 0
	s_cselect_b32 s1, s8, s1
	s_cselect_b32 s0, s7, s0
	v_mov_b32_e32 v1, s0
	v_mov_b32_e32 v2, s1
	flat_load_dwordx2 v[3:4], v[1:2]
	s_cselect_b32 s0, s12, s3
	s_cselect_b32 s1, s9, s2
	v_mov_b32_e32 v1, s1
	v_mov_b32_e32 v2, s0
	flat_load_dwordx2 v[1:2], v[1:2]
	s_waitcnt vmcnt(0) lgkmcnt(0)
	v_cmp_eq_f32_e32 vcc, 0, v3
	v_cmp_eq_f32_e64 s[0:1], 0, v4
	s_and_b64 s[8:9], vcc, s[0:1]
	s_mov_b64 s[0:1], -1
	s_and_saveexec_b64 s[2:3], s[8:9]
; %bb.1:
	v_cmp_neq_f32_e32 vcc, 1.0, v1
	v_cmp_neq_f32_e64 s[0:1], 0, v2
	s_or_b64 s[0:1], vcc, s[0:1]
	s_orn2_b64 s[0:1], s[0:1], exec
; %bb.2:
	s_or_b64 exec, exec, s[2:3]
	s_and_saveexec_b64 s[2:3], s[0:1]
	s_cbranch_execz .LBB100_35
; %bb.3:
	s_load_dwordx2 s[0:1], s[4:5], 0x10
	s_load_dword s2, s[4:5], 0x4
	v_mul_u32_u24_e32 v6, 0x2493, v0
	v_mov_b32_e32 v5, 7
	v_mul_lo_u16_sdwa v6, v6, v5 dst_sel:DWORD dst_unused:UNUSED_PAD src0_sel:WORD_1 src1_sel:DWORD
	v_sub_u16_e32 v12, v0, v6
	s_waitcnt lgkmcnt(0)
	s_cmp_lg_u32 s2, 1
	s_cselect_b64 s[12:13], -1, 0
	s_and_b64 vcc, exec, s[12:13]
	v_mov_b32_e32 v7, v12
	s_cbranch_vccnz .LBB100_5
; %bb.4:
	s_movk_i32 s2, 0x1556
	v_mul_u32_u24_sdwa v6, v0, s2 dst_sel:DWORD dst_unused:UNUSED_PAD src0_sel:WORD_0 src1_sel:DWORD
	v_mov_b32_e32 v7, 37
	v_mul_lo_u16_sdwa v7, v6, v7 dst_sel:DWORD dst_unused:UNUSED_PAD src0_sel:WORD_1 src1_sel:DWORD
	v_mul_lo_u16_sdwa v5, v7, v5 dst_sel:DWORD dst_unused:UNUSED_PAD src0_sel:BYTE_1 src1_sel:DWORD
	v_sub_u16_sdwa v5, v6, v5 dst_sel:DWORD dst_unused:UNUSED_PAD src0_sel:WORD_1 src1_sel:DWORD
	v_and_b32_e32 v7, 0xff, v5
.LBB100_5:
	s_ashr_i32 s7, s6, 31
	s_lshl_b64 s[2:3], s[6:7], 2
	s_add_u32 s0, s0, s2
	s_addc_u32 s1, s1, s3
	s_load_dwordx2 s[16:17], s[0:1], 0x0
	s_load_dwordx2 s[8:9], s[4:5], 0x40
	v_mov_b32_e32 v6, 0
	v_mov_b32_e32 v5, 0
	s_waitcnt lgkmcnt(0)
	s_cmp_ge_i32 s16, s17
	s_cbranch_scc1 .LBB100_10
; %bb.6:
	s_load_dwordx4 s[0:3], s[4:5], 0x18
	s_load_dwordx2 s[14:15], s[4:5], 0x30
	s_movk_i32 s4, 0x30d
	v_mul_u32_u24_sdwa v13, v0, s4 dst_sel:DWORD dst_unused:UNUSED_PAD src0_sel:WORD_0 src1_sel:DWORD
	s_mul_i32 s4, s16, 0x54
	v_add_u32_e32 v5, s4, v0
	s_mul_i32 s4, s10, 0x54
	v_mov_b32_e32 v9, 0
	s_sub_i32 s7, s17, s10
	s_sub_i32 s11, s16, s10
	v_subrev_u32_e32 v8, s4, v5
	v_mov_b32_e32 v6, v9
	v_mov_b32_e32 v5, v9
	s_branch .LBB100_8
.LBB100_7:                              ;   in Loop: Header=BB100_8 Depth=1
	s_or_b64 exec, exec, s[4:5]
	s_add_i32 s11, s11, 1
	s_cmp_ge_i32 s11, s7
	v_add_u32_e32 v8, 0x54, v8
	s_cbranch_scc1 .LBB100_10
.LBB100_8:                              ; =>This Inner Loop Header: Depth=1
	v_add_u32_sdwa v10, v13, s11 dst_sel:DWORD dst_unused:UNUSED_PAD src0_sel:WORD_1 src1_sel:DWORD
	v_cmp_gt_i32_e32 vcc, s7, v10
	s_and_saveexec_b64 s[4:5], vcc
	s_cbranch_execz .LBB100_7
; %bb.9:                                ;   in Loop: Header=BB100_8 Depth=1
	v_ashrrev_i32_e32 v11, 31, v10
	v_lshlrev_b64 v[10:11], 2, v[10:11]
	s_waitcnt lgkmcnt(0)
	v_mov_b32_e32 v14, s1
	v_add_co_u32_e32 v10, vcc, s0, v10
	v_addc_co_u32_e32 v11, vcc, v14, v11, vcc
	global_load_dword v14, v[10:11], off
	v_lshlrev_b64 v[10:11], 3, v[8:9]
	v_mov_b32_e32 v16, s3
	v_add_co_u32_e32 v10, vcc, s2, v10
	v_addc_co_u32_e32 v11, vcc, v16, v11, vcc
	v_mov_b32_e32 v17, s15
	global_load_dwordx2 v[10:11], v[10:11], off
	s_waitcnt vmcnt(1)
	v_subrev_u32_e32 v14, s10, v14
	v_mad_u64_u32 v[14:15], s[16:17], v14, 7, v[7:8]
	v_ashrrev_i32_e32 v15, 31, v14
	v_lshlrev_b64 v[14:15], 3, v[14:15]
	v_add_co_u32_e32 v14, vcc, s14, v14
	v_addc_co_u32_e32 v15, vcc, v17, v15, vcc
	global_load_dwordx2 v[14:15], v[14:15], off
	s_waitcnt vmcnt(0)
	v_fmac_f32_e32 v5, v10, v14
	v_fmac_f32_e32 v6, v11, v14
	v_fma_f32 v5, -v11, v15, v5
	v_fmac_f32_e32 v6, v10, v15
	s_branch .LBB100_7
.LBB100_10:
	v_lshlrev_b32_e32 v9, 3, v0
	s_and_b64 vcc, exec, s[12:13]
	ds_write_b64 v9, v[5:6]
	s_waitcnt lgkmcnt(0)
	s_barrier
	s_cbranch_vccz .LBB100_20
; %bb.11:
	v_cmp_gt_u16_e32 vcc, 3, v12
	s_and_saveexec_b64 s[0:1], vcc
	s_cbranch_execz .LBB100_13
; %bb.12:
	ds_read2_b64 v[13:16], v9 offset1:4
	s_waitcnt lgkmcnt(0)
	v_add_f32_e32 v7, v15, v13
	v_add_f32_e32 v8, v16, v14
	ds_write_b64 v9, v[7:8]
.LBB100_13:
	s_or_b64 exec, exec, s[0:1]
	v_cmp_gt_u16_e32 vcc, 2, v12
	s_waitcnt lgkmcnt(0)
	s_barrier
	s_and_saveexec_b64 s[0:1], vcc
	s_cbranch_execz .LBB100_15
; %bb.14:
	ds_read2_b64 v[13:16], v9 offset1:2
	s_waitcnt lgkmcnt(0)
	v_add_f32_e32 v7, v15, v13
	v_add_f32_e32 v8, v16, v14
	ds_write_b64 v9, v[7:8]
.LBB100_15:
	s_or_b64 exec, exec, s[0:1]
	v_cmp_eq_u16_e32 vcc, 0, v12
	s_waitcnt lgkmcnt(0)
	s_barrier
	s_and_saveexec_b64 s[0:1], vcc
	s_cbranch_execz .LBB100_17
; %bb.16:
	ds_read2_b64 v[10:13], v9 offset1:1
	s_waitcnt lgkmcnt(0)
	v_add_f32_e32 v7, v12, v10
	v_add_f32_e32 v8, v13, v11
	ds_write_b64 v9, v[7:8]
.LBB100_17:
	s_or_b64 exec, exec, s[0:1]
	v_cmp_gt_u32_e32 vcc, 12, v0
	v_mov_b32_e32 v8, v6
	v_mov_b32_e32 v7, v5
	s_waitcnt lgkmcnt(0)
	s_barrier
	s_and_saveexec_b64 s[0:1], vcc
; %bb.18:
	v_mad_u32_u24 v7, v0, 48, v9
	ds_read_b64 v[7:8], v7
; %bb.19:
	s_or_b64 exec, exec, s[0:1]
	s_branch .LBB100_30
.LBB100_20:
                                        ; implicit-def: $vgpr8
	s_cbranch_execz .LBB100_30
; %bb.21:
	v_cmp_gt_u32_e32 vcc, 36, v0
	s_and_saveexec_b64 s[0:1], vcc
	s_cbranch_execz .LBB100_23
; %bb.22:
	ds_read2_b64 v[10:13], v9 offset1:48
	s_waitcnt lgkmcnt(0)
	v_add_f32_e32 v7, v12, v10
	v_add_f32_e32 v8, v13, v11
	ds_write_b64 v9, v[7:8]
.LBB100_23:
	s_or_b64 exec, exec, s[0:1]
	v_cmp_gt_u32_e32 vcc, 24, v0
	s_waitcnt lgkmcnt(0)
	s_barrier
	s_and_saveexec_b64 s[0:1], vcc
	s_cbranch_execz .LBB100_25
; %bb.24:
	ds_read2_b64 v[10:13], v9 offset1:24
	s_waitcnt lgkmcnt(0)
	v_add_f32_e32 v7, v12, v10
	v_add_f32_e32 v8, v13, v11
	ds_write_b64 v9, v[7:8]
.LBB100_25:
	s_or_b64 exec, exec, s[0:1]
	v_cmp_lt_u32_e32 vcc, 11, v0
	s_waitcnt lgkmcnt(0)
	s_and_saveexec_b64 s[0:1], vcc
	s_xor_b64 s[0:1], exec, s[0:1]
; %bb.26:
                                        ; implicit-def: $vgpr9
; %bb.27:
	s_andn2_saveexec_b64 s[0:1], s[0:1]
	s_cbranch_execz .LBB100_29
; %bb.28:
	ds_read2_b64 v[5:8], v9 offset1:12
	s_waitcnt lgkmcnt(0)
	v_add_f32_e32 v5, v7, v5
	v_add_f32_e32 v6, v8, v6
	ds_write_b64 v9, v[5:6]
	s_waitcnt lgkmcnt(0)
	ds_read_b64 v[5:6], v9
.LBB100_29:
	s_or_b64 exec, exec, s[0:1]
	s_waitcnt lgkmcnt(0)
	v_mov_b32_e32 v8, v6
	v_mov_b32_e32 v7, v5
.LBB100_30:
	v_cmp_gt_u32_e32 vcc, 12, v0
	s_and_b64 exec, exec, vcc
	s_cbranch_execz .LBB100_35
; %bb.31:
	v_cmp_eq_f32_e32 vcc, 0, v1
	v_cmp_eq_f32_e64 s[0:1], 0, v2
	s_waitcnt lgkmcnt(0)
	v_mul_f32_e64 v5, v8, -v4
	v_mul_f32_e32 v6, v3, v8
	s_and_b64 s[0:1], vcc, s[0:1]
	v_fmac_f32_e32 v5, v3, v7
	v_fmac_f32_e32 v6, v4, v7
	s_and_saveexec_b64 s[2:3], s[0:1]
	s_xor_b64 s[0:1], exec, s[2:3]
	s_cbranch_execz .LBB100_33
; %bb.32:
	v_mad_u64_u32 v[0:1], s[2:3], s6, 12, v[0:1]
	v_mov_b32_e32 v1, 0
	v_mov_b32_e32 v2, s9
	v_lshlrev_b64 v[0:1], 3, v[0:1]
	v_add_co_u32_e32 v0, vcc, s8, v0
	v_addc_co_u32_e32 v1, vcc, v2, v1, vcc
	global_store_dwordx2 v[0:1], v[5:6], off
                                        ; implicit-def: $vgpr0
                                        ; implicit-def: $vgpr1_vgpr2
                                        ; implicit-def: $vgpr5
.LBB100_33:
	s_andn2_saveexec_b64 s[0:1], s[0:1]
	s_cbranch_execz .LBB100_35
; %bb.34:
	v_mad_u64_u32 v[3:4], s[0:1], s6, 12, v[0:1]
	v_mov_b32_e32 v4, 0
	v_mov_b32_e32 v0, s9
	v_lshlrev_b64 v[3:4], 3, v[3:4]
	v_add_co_u32_e32 v3, vcc, s8, v3
	v_addc_co_u32_e32 v4, vcc, v0, v4, vcc
	global_load_dwordx2 v[7:8], v[3:4], off
	s_waitcnt vmcnt(0)
	v_fmac_f32_e32 v5, v1, v7
	v_fmac_f32_e32 v6, v2, v7
	v_fma_f32 v5, -v2, v8, v5
	v_fmac_f32_e32 v6, v1, v8
	global_store_dwordx2 v[3:4], v[5:6], off
.LBB100_35:
	s_endpgm
	.section	.rodata,"a",@progbits
	.p2align	6, 0x0
	.amdhsa_kernel _ZN9rocsparseL22gebsrmvn_mxn_16_kernelILj84ELj12ELj7E21rocsparse_complex_numIfEEEvi20rocsparse_direction_NS_24const_host_device_scalarIT2_EEPKiS8_PKS5_iiSA_S6_PS5_21rocsparse_index_base_b
		.amdhsa_group_segment_fixed_size 672
		.amdhsa_private_segment_fixed_size 0
		.amdhsa_kernarg_size 80
		.amdhsa_user_sgpr_count 6
		.amdhsa_user_sgpr_private_segment_buffer 1
		.amdhsa_user_sgpr_dispatch_ptr 0
		.amdhsa_user_sgpr_queue_ptr 0
		.amdhsa_user_sgpr_kernarg_segment_ptr 1
		.amdhsa_user_sgpr_dispatch_id 0
		.amdhsa_user_sgpr_flat_scratch_init 0
		.amdhsa_user_sgpr_private_segment_size 0
		.amdhsa_uses_dynamic_stack 0
		.amdhsa_system_sgpr_private_segment_wavefront_offset 0
		.amdhsa_system_sgpr_workgroup_id_x 1
		.amdhsa_system_sgpr_workgroup_id_y 0
		.amdhsa_system_sgpr_workgroup_id_z 0
		.amdhsa_system_sgpr_workgroup_info 0
		.amdhsa_system_vgpr_workitem_id 0
		.amdhsa_next_free_vgpr 18
		.amdhsa_next_free_sgpr 18
		.amdhsa_reserve_vcc 1
		.amdhsa_reserve_flat_scratch 0
		.amdhsa_float_round_mode_32 0
		.amdhsa_float_round_mode_16_64 0
		.amdhsa_float_denorm_mode_32 3
		.amdhsa_float_denorm_mode_16_64 3
		.amdhsa_dx10_clamp 1
		.amdhsa_ieee_mode 1
		.amdhsa_fp16_overflow 0
		.amdhsa_exception_fp_ieee_invalid_op 0
		.amdhsa_exception_fp_denorm_src 0
		.amdhsa_exception_fp_ieee_div_zero 0
		.amdhsa_exception_fp_ieee_overflow 0
		.amdhsa_exception_fp_ieee_underflow 0
		.amdhsa_exception_fp_ieee_inexact 0
		.amdhsa_exception_int_div_zero 0
	.end_amdhsa_kernel
	.section	.text._ZN9rocsparseL22gebsrmvn_mxn_16_kernelILj84ELj12ELj7E21rocsparse_complex_numIfEEEvi20rocsparse_direction_NS_24const_host_device_scalarIT2_EEPKiS8_PKS5_iiSA_S6_PS5_21rocsparse_index_base_b,"axG",@progbits,_ZN9rocsparseL22gebsrmvn_mxn_16_kernelILj84ELj12ELj7E21rocsparse_complex_numIfEEEvi20rocsparse_direction_NS_24const_host_device_scalarIT2_EEPKiS8_PKS5_iiSA_S6_PS5_21rocsparse_index_base_b,comdat
.Lfunc_end100:
	.size	_ZN9rocsparseL22gebsrmvn_mxn_16_kernelILj84ELj12ELj7E21rocsparse_complex_numIfEEEvi20rocsparse_direction_NS_24const_host_device_scalarIT2_EEPKiS8_PKS5_iiSA_S6_PS5_21rocsparse_index_base_b, .Lfunc_end100-_ZN9rocsparseL22gebsrmvn_mxn_16_kernelILj84ELj12ELj7E21rocsparse_complex_numIfEEEvi20rocsparse_direction_NS_24const_host_device_scalarIT2_EEPKiS8_PKS5_iiSA_S6_PS5_21rocsparse_index_base_b
                                        ; -- End function
	.set _ZN9rocsparseL22gebsrmvn_mxn_16_kernelILj84ELj12ELj7E21rocsparse_complex_numIfEEEvi20rocsparse_direction_NS_24const_host_device_scalarIT2_EEPKiS8_PKS5_iiSA_S6_PS5_21rocsparse_index_base_b.num_vgpr, 18
	.set _ZN9rocsparseL22gebsrmvn_mxn_16_kernelILj84ELj12ELj7E21rocsparse_complex_numIfEEEvi20rocsparse_direction_NS_24const_host_device_scalarIT2_EEPKiS8_PKS5_iiSA_S6_PS5_21rocsparse_index_base_b.num_agpr, 0
	.set _ZN9rocsparseL22gebsrmvn_mxn_16_kernelILj84ELj12ELj7E21rocsparse_complex_numIfEEEvi20rocsparse_direction_NS_24const_host_device_scalarIT2_EEPKiS8_PKS5_iiSA_S6_PS5_21rocsparse_index_base_b.numbered_sgpr, 18
	.set _ZN9rocsparseL22gebsrmvn_mxn_16_kernelILj84ELj12ELj7E21rocsparse_complex_numIfEEEvi20rocsparse_direction_NS_24const_host_device_scalarIT2_EEPKiS8_PKS5_iiSA_S6_PS5_21rocsparse_index_base_b.num_named_barrier, 0
	.set _ZN9rocsparseL22gebsrmvn_mxn_16_kernelILj84ELj12ELj7E21rocsparse_complex_numIfEEEvi20rocsparse_direction_NS_24const_host_device_scalarIT2_EEPKiS8_PKS5_iiSA_S6_PS5_21rocsparse_index_base_b.private_seg_size, 0
	.set _ZN9rocsparseL22gebsrmvn_mxn_16_kernelILj84ELj12ELj7E21rocsparse_complex_numIfEEEvi20rocsparse_direction_NS_24const_host_device_scalarIT2_EEPKiS8_PKS5_iiSA_S6_PS5_21rocsparse_index_base_b.uses_vcc, 1
	.set _ZN9rocsparseL22gebsrmvn_mxn_16_kernelILj84ELj12ELj7E21rocsparse_complex_numIfEEEvi20rocsparse_direction_NS_24const_host_device_scalarIT2_EEPKiS8_PKS5_iiSA_S6_PS5_21rocsparse_index_base_b.uses_flat_scratch, 0
	.set _ZN9rocsparseL22gebsrmvn_mxn_16_kernelILj84ELj12ELj7E21rocsparse_complex_numIfEEEvi20rocsparse_direction_NS_24const_host_device_scalarIT2_EEPKiS8_PKS5_iiSA_S6_PS5_21rocsparse_index_base_b.has_dyn_sized_stack, 0
	.set _ZN9rocsparseL22gebsrmvn_mxn_16_kernelILj84ELj12ELj7E21rocsparse_complex_numIfEEEvi20rocsparse_direction_NS_24const_host_device_scalarIT2_EEPKiS8_PKS5_iiSA_S6_PS5_21rocsparse_index_base_b.has_recursion, 0
	.set _ZN9rocsparseL22gebsrmvn_mxn_16_kernelILj84ELj12ELj7E21rocsparse_complex_numIfEEEvi20rocsparse_direction_NS_24const_host_device_scalarIT2_EEPKiS8_PKS5_iiSA_S6_PS5_21rocsparse_index_base_b.has_indirect_call, 0
	.section	.AMDGPU.csdata,"",@progbits
; Kernel info:
; codeLenInByte = 1172
; TotalNumSgprs: 22
; NumVgprs: 18
; ScratchSize: 0
; MemoryBound: 0
; FloatMode: 240
; IeeeMode: 1
; LDSByteSize: 672 bytes/workgroup (compile time only)
; SGPRBlocks: 2
; VGPRBlocks: 4
; NumSGPRsForWavesPerEU: 22
; NumVGPRsForWavesPerEU: 18
; Occupancy: 10
; WaveLimiterHint : 1
; COMPUTE_PGM_RSRC2:SCRATCH_EN: 0
; COMPUTE_PGM_RSRC2:USER_SGPR: 6
; COMPUTE_PGM_RSRC2:TRAP_HANDLER: 0
; COMPUTE_PGM_RSRC2:TGID_X_EN: 1
; COMPUTE_PGM_RSRC2:TGID_Y_EN: 0
; COMPUTE_PGM_RSRC2:TGID_Z_EN: 0
; COMPUTE_PGM_RSRC2:TIDIG_COMP_CNT: 0
	.section	.text._ZN9rocsparseL22gebsrmvn_mxn_16_kernelILj96ELj12ELj8E21rocsparse_complex_numIfEEEvi20rocsparse_direction_NS_24const_host_device_scalarIT2_EEPKiS8_PKS5_iiSA_S6_PS5_21rocsparse_index_base_b,"axG",@progbits,_ZN9rocsparseL22gebsrmvn_mxn_16_kernelILj96ELj12ELj8E21rocsparse_complex_numIfEEEvi20rocsparse_direction_NS_24const_host_device_scalarIT2_EEPKiS8_PKS5_iiSA_S6_PS5_21rocsparse_index_base_b,comdat
	.globl	_ZN9rocsparseL22gebsrmvn_mxn_16_kernelILj96ELj12ELj8E21rocsparse_complex_numIfEEEvi20rocsparse_direction_NS_24const_host_device_scalarIT2_EEPKiS8_PKS5_iiSA_S6_PS5_21rocsparse_index_base_b ; -- Begin function _ZN9rocsparseL22gebsrmvn_mxn_16_kernelILj96ELj12ELj8E21rocsparse_complex_numIfEEEvi20rocsparse_direction_NS_24const_host_device_scalarIT2_EEPKiS8_PKS5_iiSA_S6_PS5_21rocsparse_index_base_b
	.p2align	8
	.type	_ZN9rocsparseL22gebsrmvn_mxn_16_kernelILj96ELj12ELj8E21rocsparse_complex_numIfEEEvi20rocsparse_direction_NS_24const_host_device_scalarIT2_EEPKiS8_PKS5_iiSA_S6_PS5_21rocsparse_index_base_b,@function
_ZN9rocsparseL22gebsrmvn_mxn_16_kernelILj96ELj12ELj8E21rocsparse_complex_numIfEEEvi20rocsparse_direction_NS_24const_host_device_scalarIT2_EEPKiS8_PKS5_iiSA_S6_PS5_21rocsparse_index_base_b: ; @_ZN9rocsparseL22gebsrmvn_mxn_16_kernelILj96ELj12ELj8E21rocsparse_complex_numIfEEEvi20rocsparse_direction_NS_24const_host_device_scalarIT2_EEPKiS8_PKS5_iiSA_S6_PS5_21rocsparse_index_base_b
; %bb.0:
	s_load_dwordx2 s[0:1], s[4:5], 0x8
	s_load_dwordx2 s[2:3], s[4:5], 0x38
	;; [unrolled: 1-line block ×3, first 2 shown]
	s_add_u32 s7, s4, 8
	s_addc_u32 s8, s5, 0
	s_add_u32 s9, s4, 56
	s_addc_u32 s12, s5, 0
	s_waitcnt lgkmcnt(0)
	s_bitcmp1_b32 s11, 0
	s_cselect_b32 s1, s8, s1
	s_cselect_b32 s0, s7, s0
	v_mov_b32_e32 v1, s0
	v_mov_b32_e32 v2, s1
	flat_load_dwordx2 v[3:4], v[1:2]
	s_cselect_b32 s0, s12, s3
	s_cselect_b32 s1, s9, s2
	v_mov_b32_e32 v1, s1
	v_mov_b32_e32 v2, s0
	flat_load_dwordx2 v[1:2], v[1:2]
	s_waitcnt vmcnt(0) lgkmcnt(0)
	v_cmp_eq_f32_e32 vcc, 0, v3
	v_cmp_eq_f32_e64 s[0:1], 0, v4
	s_and_b64 s[8:9], vcc, s[0:1]
	s_mov_b64 s[0:1], -1
	s_and_saveexec_b64 s[2:3], s[8:9]
; %bb.1:
	v_cmp_neq_f32_e32 vcc, 1.0, v1
	v_cmp_neq_f32_e64 s[0:1], 0, v2
	s_or_b64 s[0:1], vcc, s[0:1]
	s_orn2_b64 s[0:1], s[0:1], exec
; %bb.2:
	s_or_b64 exec, exec, s[2:3]
	s_and_saveexec_b64 s[2:3], s[0:1]
	s_cbranch_execz .LBB101_35
; %bb.3:
	s_load_dword s2, s[4:5], 0x4
	s_load_dwordx2 s[0:1], s[4:5], 0x10
	v_and_b32_e32 v11, 7, v0
	v_mov_b32_e32 v12, v11
	s_waitcnt lgkmcnt(0)
	s_cmp_lg_u32 s2, 1
	s_cselect_b64 s[12:13], -1, 0
	s_and_b64 vcc, exec, s[12:13]
	s_cbranch_vccnz .LBB101_5
; %bb.4:
	v_mul_u32_u24_e32 v5, 0x1556, v0
	v_bfe_u32 v12, v5, 16, 3
.LBB101_5:
	s_ashr_i32 s7, s6, 31
	s_lshl_b64 s[2:3], s[6:7], 2
	s_add_u32 s0, s0, s2
	s_addc_u32 s1, s1, s3
	s_load_dwordx2 s[16:17], s[0:1], 0x0
	s_load_dwordx2 s[8:9], s[4:5], 0x40
	v_mov_b32_e32 v6, 0
	v_mov_b32_e32 v5, 0
	s_waitcnt lgkmcnt(0)
	s_cmp_ge_i32 s16, s17
	s_cbranch_scc1 .LBB101_10
; %bb.6:
	s_load_dwordx4 s[0:3], s[4:5], 0x18
	s_load_dwordx2 s[14:15], s[4:5], 0x30
	s_mul_i32 s4, s16, 0x60
	v_add_u32_e32 v5, s4, v0
	s_mul_i32 s4, s10, 0x60
	v_mov_b32_e32 v8, 0
	s_sub_i32 s7, s17, s10
	s_sub_i32 s11, s16, s10
	v_mul_u32_u24_e32 v13, 0x2ab, v0
	v_subrev_u32_e32 v7, s4, v5
	v_mov_b32_e32 v6, v8
	v_mov_b32_e32 v5, v8
	s_branch .LBB101_8
.LBB101_7:                              ;   in Loop: Header=BB101_8 Depth=1
	s_or_b64 exec, exec, s[4:5]
	s_add_i32 s11, s11, 1
	s_cmp_ge_i32 s11, s7
	v_add_u32_e32 v7, 0x60, v7
	s_cbranch_scc1 .LBB101_10
.LBB101_8:                              ; =>This Inner Loop Header: Depth=1
	v_add_u32_sdwa v9, v13, s11 dst_sel:DWORD dst_unused:UNUSED_PAD src0_sel:WORD_1 src1_sel:DWORD
	v_cmp_gt_i32_e32 vcc, s7, v9
	s_and_saveexec_b64 s[4:5], vcc
	s_cbranch_execz .LBB101_7
; %bb.9:                                ;   in Loop: Header=BB101_8 Depth=1
	v_ashrrev_i32_e32 v10, 31, v9
	v_lshlrev_b64 v[9:10], 2, v[9:10]
	s_waitcnt lgkmcnt(0)
	v_mov_b32_e32 v14, s1
	v_add_co_u32_e32 v9, vcc, s0, v9
	v_addc_co_u32_e32 v10, vcc, v14, v10, vcc
	global_load_dword v14, v[9:10], off
	v_lshlrev_b64 v[9:10], 3, v[7:8]
	v_mov_b32_e32 v15, s3
	v_add_co_u32_e32 v9, vcc, s2, v9
	v_addc_co_u32_e32 v10, vcc, v15, v10, vcc
	v_mov_b32_e32 v16, s15
	global_load_dwordx2 v[9:10], v[9:10], off
	s_waitcnt vmcnt(1)
	v_subrev_u32_e32 v14, s10, v14
	v_lshl_or_b32 v14, v14, 3, v12
	v_ashrrev_i32_e32 v15, 31, v14
	v_lshlrev_b64 v[14:15], 3, v[14:15]
	v_add_co_u32_e32 v14, vcc, s14, v14
	v_addc_co_u32_e32 v15, vcc, v16, v15, vcc
	global_load_dwordx2 v[14:15], v[14:15], off
	s_waitcnt vmcnt(0)
	v_fmac_f32_e32 v5, v9, v14
	v_fmac_f32_e32 v6, v10, v14
	v_fma_f32 v5, -v10, v15, v5
	v_fmac_f32_e32 v6, v9, v15
	s_branch .LBB101_7
.LBB101_10:
	v_lshlrev_b32_e32 v9, 3, v0
	s_and_b64 vcc, exec, s[12:13]
	ds_write_b64 v9, v[5:6]
	s_waitcnt lgkmcnt(0)
	s_barrier
	s_cbranch_vccz .LBB101_20
; %bb.11:
	v_cmp_gt_u32_e32 vcc, 4, v11
	s_and_saveexec_b64 s[0:1], vcc
	s_cbranch_execz .LBB101_13
; %bb.12:
	ds_read2_b64 v[12:15], v9 offset1:4
	s_waitcnt lgkmcnt(0)
	v_add_f32_e32 v7, v14, v12
	v_add_f32_e32 v8, v15, v13
	ds_write_b64 v9, v[7:8]
.LBB101_13:
	s_or_b64 exec, exec, s[0:1]
	v_cmp_gt_u32_e32 vcc, 2, v11
	s_waitcnt lgkmcnt(0)
	s_barrier
	s_and_saveexec_b64 s[0:1], vcc
	s_cbranch_execz .LBB101_15
; %bb.14:
	ds_read2_b64 v[12:15], v9 offset1:2
	s_waitcnt lgkmcnt(0)
	v_add_f32_e32 v7, v14, v12
	v_add_f32_e32 v8, v15, v13
	ds_write_b64 v9, v[7:8]
.LBB101_15:
	s_or_b64 exec, exec, s[0:1]
	v_cmp_eq_u32_e32 vcc, 0, v11
	s_waitcnt lgkmcnt(0)
	s_barrier
	s_and_saveexec_b64 s[0:1], vcc
	s_cbranch_execz .LBB101_17
; %bb.16:
	ds_read2_b64 v[10:13], v9 offset1:1
	s_waitcnt lgkmcnt(0)
	v_add_f32_e32 v7, v12, v10
	v_add_f32_e32 v8, v13, v11
	ds_write_b64 v9, v[7:8]
.LBB101_17:
	s_or_b64 exec, exec, s[0:1]
	v_cmp_gt_u32_e32 vcc, 12, v0
	v_mov_b32_e32 v8, v6
	v_mov_b32_e32 v7, v5
	s_waitcnt lgkmcnt(0)
	s_barrier
	s_and_saveexec_b64 s[0:1], vcc
; %bb.18:
	v_mad_u32_u24 v7, v0, 56, v9
	ds_read_b64 v[7:8], v7
; %bb.19:
	s_or_b64 exec, exec, s[0:1]
	s_branch .LBB101_30
.LBB101_20:
                                        ; implicit-def: $vgpr8
	s_cbranch_execz .LBB101_30
; %bb.21:
	v_cmp_gt_u32_e32 vcc, 48, v0
	s_and_saveexec_b64 s[0:1], vcc
	s_cbranch_execz .LBB101_23
; %bb.22:
	ds_read2_b64 v[10:13], v9 offset1:48
	s_waitcnt lgkmcnt(0)
	v_add_f32_e32 v7, v12, v10
	v_add_f32_e32 v8, v13, v11
	ds_write_b64 v9, v[7:8]
.LBB101_23:
	s_or_b64 exec, exec, s[0:1]
	v_cmp_gt_u32_e32 vcc, 24, v0
	s_waitcnt lgkmcnt(0)
	s_barrier
	s_and_saveexec_b64 s[0:1], vcc
	s_cbranch_execz .LBB101_25
; %bb.24:
	ds_read2_b64 v[10:13], v9 offset1:24
	s_waitcnt lgkmcnt(0)
	v_add_f32_e32 v7, v12, v10
	v_add_f32_e32 v8, v13, v11
	ds_write_b64 v9, v[7:8]
.LBB101_25:
	s_or_b64 exec, exec, s[0:1]
	v_cmp_lt_u32_e32 vcc, 11, v0
	s_waitcnt lgkmcnt(0)
	s_and_saveexec_b64 s[0:1], vcc
	s_xor_b64 s[0:1], exec, s[0:1]
; %bb.26:
                                        ; implicit-def: $vgpr9
; %bb.27:
	s_andn2_saveexec_b64 s[0:1], s[0:1]
	s_cbranch_execz .LBB101_29
; %bb.28:
	ds_read2_b64 v[5:8], v9 offset1:12
	s_waitcnt lgkmcnt(0)
	v_add_f32_e32 v5, v7, v5
	v_add_f32_e32 v6, v8, v6
	ds_write_b64 v9, v[5:6]
	s_waitcnt lgkmcnt(0)
	ds_read_b64 v[5:6], v9
.LBB101_29:
	s_or_b64 exec, exec, s[0:1]
	s_waitcnt lgkmcnt(0)
	v_mov_b32_e32 v8, v6
	v_mov_b32_e32 v7, v5
.LBB101_30:
	v_cmp_gt_u32_e32 vcc, 12, v0
	s_and_b64 exec, exec, vcc
	s_cbranch_execz .LBB101_35
; %bb.31:
	v_cmp_eq_f32_e32 vcc, 0, v1
	v_cmp_eq_f32_e64 s[0:1], 0, v2
	s_waitcnt lgkmcnt(0)
	v_mul_f32_e64 v5, v8, -v4
	v_mul_f32_e32 v6, v3, v8
	s_and_b64 s[0:1], vcc, s[0:1]
	v_fmac_f32_e32 v5, v3, v7
	v_fmac_f32_e32 v6, v4, v7
	s_and_saveexec_b64 s[2:3], s[0:1]
	s_xor_b64 s[0:1], exec, s[2:3]
	s_cbranch_execz .LBB101_33
; %bb.32:
	v_mad_u64_u32 v[0:1], s[2:3], s6, 12, v[0:1]
	v_mov_b32_e32 v1, 0
	v_mov_b32_e32 v2, s9
	v_lshlrev_b64 v[0:1], 3, v[0:1]
	v_add_co_u32_e32 v0, vcc, s8, v0
	v_addc_co_u32_e32 v1, vcc, v2, v1, vcc
	global_store_dwordx2 v[0:1], v[5:6], off
                                        ; implicit-def: $vgpr0
                                        ; implicit-def: $vgpr1_vgpr2
                                        ; implicit-def: $vgpr5
.LBB101_33:
	s_andn2_saveexec_b64 s[0:1], s[0:1]
	s_cbranch_execz .LBB101_35
; %bb.34:
	v_mad_u64_u32 v[3:4], s[0:1], s6, 12, v[0:1]
	v_mov_b32_e32 v4, 0
	v_mov_b32_e32 v0, s9
	v_lshlrev_b64 v[3:4], 3, v[3:4]
	v_add_co_u32_e32 v3, vcc, s8, v3
	v_addc_co_u32_e32 v4, vcc, v0, v4, vcc
	global_load_dwordx2 v[7:8], v[3:4], off
	s_waitcnt vmcnt(0)
	v_fmac_f32_e32 v5, v1, v7
	v_fmac_f32_e32 v6, v2, v7
	v_fma_f32 v5, -v2, v8, v5
	v_fmac_f32_e32 v6, v1, v8
	global_store_dwordx2 v[3:4], v[5:6], off
.LBB101_35:
	s_endpgm
	.section	.rodata,"a",@progbits
	.p2align	6, 0x0
	.amdhsa_kernel _ZN9rocsparseL22gebsrmvn_mxn_16_kernelILj96ELj12ELj8E21rocsparse_complex_numIfEEEvi20rocsparse_direction_NS_24const_host_device_scalarIT2_EEPKiS8_PKS5_iiSA_S6_PS5_21rocsparse_index_base_b
		.amdhsa_group_segment_fixed_size 768
		.amdhsa_private_segment_fixed_size 0
		.amdhsa_kernarg_size 80
		.amdhsa_user_sgpr_count 6
		.amdhsa_user_sgpr_private_segment_buffer 1
		.amdhsa_user_sgpr_dispatch_ptr 0
		.amdhsa_user_sgpr_queue_ptr 0
		.amdhsa_user_sgpr_kernarg_segment_ptr 1
		.amdhsa_user_sgpr_dispatch_id 0
		.amdhsa_user_sgpr_flat_scratch_init 0
		.amdhsa_user_sgpr_private_segment_size 0
		.amdhsa_uses_dynamic_stack 0
		.amdhsa_system_sgpr_private_segment_wavefront_offset 0
		.amdhsa_system_sgpr_workgroup_id_x 1
		.amdhsa_system_sgpr_workgroup_id_y 0
		.amdhsa_system_sgpr_workgroup_id_z 0
		.amdhsa_system_sgpr_workgroup_info 0
		.amdhsa_system_vgpr_workitem_id 0
		.amdhsa_next_free_vgpr 17
		.amdhsa_next_free_sgpr 18
		.amdhsa_reserve_vcc 1
		.amdhsa_reserve_flat_scratch 0
		.amdhsa_float_round_mode_32 0
		.amdhsa_float_round_mode_16_64 0
		.amdhsa_float_denorm_mode_32 3
		.amdhsa_float_denorm_mode_16_64 3
		.amdhsa_dx10_clamp 1
		.amdhsa_ieee_mode 1
		.amdhsa_fp16_overflow 0
		.amdhsa_exception_fp_ieee_invalid_op 0
		.amdhsa_exception_fp_denorm_src 0
		.amdhsa_exception_fp_ieee_div_zero 0
		.amdhsa_exception_fp_ieee_overflow 0
		.amdhsa_exception_fp_ieee_underflow 0
		.amdhsa_exception_fp_ieee_inexact 0
		.amdhsa_exception_int_div_zero 0
	.end_amdhsa_kernel
	.section	.text._ZN9rocsparseL22gebsrmvn_mxn_16_kernelILj96ELj12ELj8E21rocsparse_complex_numIfEEEvi20rocsparse_direction_NS_24const_host_device_scalarIT2_EEPKiS8_PKS5_iiSA_S6_PS5_21rocsparse_index_base_b,"axG",@progbits,_ZN9rocsparseL22gebsrmvn_mxn_16_kernelILj96ELj12ELj8E21rocsparse_complex_numIfEEEvi20rocsparse_direction_NS_24const_host_device_scalarIT2_EEPKiS8_PKS5_iiSA_S6_PS5_21rocsparse_index_base_b,comdat
.Lfunc_end101:
	.size	_ZN9rocsparseL22gebsrmvn_mxn_16_kernelILj96ELj12ELj8E21rocsparse_complex_numIfEEEvi20rocsparse_direction_NS_24const_host_device_scalarIT2_EEPKiS8_PKS5_iiSA_S6_PS5_21rocsparse_index_base_b, .Lfunc_end101-_ZN9rocsparseL22gebsrmvn_mxn_16_kernelILj96ELj12ELj8E21rocsparse_complex_numIfEEEvi20rocsparse_direction_NS_24const_host_device_scalarIT2_EEPKiS8_PKS5_iiSA_S6_PS5_21rocsparse_index_base_b
                                        ; -- End function
	.set _ZN9rocsparseL22gebsrmvn_mxn_16_kernelILj96ELj12ELj8E21rocsparse_complex_numIfEEEvi20rocsparse_direction_NS_24const_host_device_scalarIT2_EEPKiS8_PKS5_iiSA_S6_PS5_21rocsparse_index_base_b.num_vgpr, 17
	.set _ZN9rocsparseL22gebsrmvn_mxn_16_kernelILj96ELj12ELj8E21rocsparse_complex_numIfEEEvi20rocsparse_direction_NS_24const_host_device_scalarIT2_EEPKiS8_PKS5_iiSA_S6_PS5_21rocsparse_index_base_b.num_agpr, 0
	.set _ZN9rocsparseL22gebsrmvn_mxn_16_kernelILj96ELj12ELj8E21rocsparse_complex_numIfEEEvi20rocsparse_direction_NS_24const_host_device_scalarIT2_EEPKiS8_PKS5_iiSA_S6_PS5_21rocsparse_index_base_b.numbered_sgpr, 18
	.set _ZN9rocsparseL22gebsrmvn_mxn_16_kernelILj96ELj12ELj8E21rocsparse_complex_numIfEEEvi20rocsparse_direction_NS_24const_host_device_scalarIT2_EEPKiS8_PKS5_iiSA_S6_PS5_21rocsparse_index_base_b.num_named_barrier, 0
	.set _ZN9rocsparseL22gebsrmvn_mxn_16_kernelILj96ELj12ELj8E21rocsparse_complex_numIfEEEvi20rocsparse_direction_NS_24const_host_device_scalarIT2_EEPKiS8_PKS5_iiSA_S6_PS5_21rocsparse_index_base_b.private_seg_size, 0
	.set _ZN9rocsparseL22gebsrmvn_mxn_16_kernelILj96ELj12ELj8E21rocsparse_complex_numIfEEEvi20rocsparse_direction_NS_24const_host_device_scalarIT2_EEPKiS8_PKS5_iiSA_S6_PS5_21rocsparse_index_base_b.uses_vcc, 1
	.set _ZN9rocsparseL22gebsrmvn_mxn_16_kernelILj96ELj12ELj8E21rocsparse_complex_numIfEEEvi20rocsparse_direction_NS_24const_host_device_scalarIT2_EEPKiS8_PKS5_iiSA_S6_PS5_21rocsparse_index_base_b.uses_flat_scratch, 0
	.set _ZN9rocsparseL22gebsrmvn_mxn_16_kernelILj96ELj12ELj8E21rocsparse_complex_numIfEEEvi20rocsparse_direction_NS_24const_host_device_scalarIT2_EEPKiS8_PKS5_iiSA_S6_PS5_21rocsparse_index_base_b.has_dyn_sized_stack, 0
	.set _ZN9rocsparseL22gebsrmvn_mxn_16_kernelILj96ELj12ELj8E21rocsparse_complex_numIfEEEvi20rocsparse_direction_NS_24const_host_device_scalarIT2_EEPKiS8_PKS5_iiSA_S6_PS5_21rocsparse_index_base_b.has_recursion, 0
	.set _ZN9rocsparseL22gebsrmvn_mxn_16_kernelILj96ELj12ELj8E21rocsparse_complex_numIfEEEvi20rocsparse_direction_NS_24const_host_device_scalarIT2_EEPKiS8_PKS5_iiSA_S6_PS5_21rocsparse_index_base_b.has_indirect_call, 0
	.section	.AMDGPU.csdata,"",@progbits
; Kernel info:
; codeLenInByte = 1116
; TotalNumSgprs: 22
; NumVgprs: 17
; ScratchSize: 0
; MemoryBound: 0
; FloatMode: 240
; IeeeMode: 1
; LDSByteSize: 768 bytes/workgroup (compile time only)
; SGPRBlocks: 2
; VGPRBlocks: 4
; NumSGPRsForWavesPerEU: 22
; NumVGPRsForWavesPerEU: 17
; Occupancy: 10
; WaveLimiterHint : 1
; COMPUTE_PGM_RSRC2:SCRATCH_EN: 0
; COMPUTE_PGM_RSRC2:USER_SGPR: 6
; COMPUTE_PGM_RSRC2:TRAP_HANDLER: 0
; COMPUTE_PGM_RSRC2:TGID_X_EN: 1
; COMPUTE_PGM_RSRC2:TGID_Y_EN: 0
; COMPUTE_PGM_RSRC2:TGID_Z_EN: 0
; COMPUTE_PGM_RSRC2:TIDIG_COMP_CNT: 0
	.section	.text._ZN9rocsparseL22gebsrmvn_mxn_16_kernelILj63ELj9ELj1E21rocsparse_complex_numIdEEEvi20rocsparse_direction_NS_24const_host_device_scalarIT2_EEPKiS8_PKS5_iiSA_S6_PS5_21rocsparse_index_base_b,"axG",@progbits,_ZN9rocsparseL22gebsrmvn_mxn_16_kernelILj63ELj9ELj1E21rocsparse_complex_numIdEEEvi20rocsparse_direction_NS_24const_host_device_scalarIT2_EEPKiS8_PKS5_iiSA_S6_PS5_21rocsparse_index_base_b,comdat
	.globl	_ZN9rocsparseL22gebsrmvn_mxn_16_kernelILj63ELj9ELj1E21rocsparse_complex_numIdEEEvi20rocsparse_direction_NS_24const_host_device_scalarIT2_EEPKiS8_PKS5_iiSA_S6_PS5_21rocsparse_index_base_b ; -- Begin function _ZN9rocsparseL22gebsrmvn_mxn_16_kernelILj63ELj9ELj1E21rocsparse_complex_numIdEEEvi20rocsparse_direction_NS_24const_host_device_scalarIT2_EEPKiS8_PKS5_iiSA_S6_PS5_21rocsparse_index_base_b
	.p2align	8
	.type	_ZN9rocsparseL22gebsrmvn_mxn_16_kernelILj63ELj9ELj1E21rocsparse_complex_numIdEEEvi20rocsparse_direction_NS_24const_host_device_scalarIT2_EEPKiS8_PKS5_iiSA_S6_PS5_21rocsparse_index_base_b,@function
_ZN9rocsparseL22gebsrmvn_mxn_16_kernelILj63ELj9ELj1E21rocsparse_complex_numIdEEEvi20rocsparse_direction_NS_24const_host_device_scalarIT2_EEPKiS8_PKS5_iiSA_S6_PS5_21rocsparse_index_base_b: ; @_ZN9rocsparseL22gebsrmvn_mxn_16_kernelILj63ELj9ELj1E21rocsparse_complex_numIdEEEvi20rocsparse_direction_NS_24const_host_device_scalarIT2_EEPKiS8_PKS5_iiSA_S6_PS5_21rocsparse_index_base_b
; %bb.0:
	s_load_dwordx2 s[0:1], s[4:5], 0x8
	s_load_dwordx2 s[2:3], s[4:5], 0x40
	;; [unrolled: 1-line block ×3, first 2 shown]
	s_add_u32 s7, s4, 8
	s_addc_u32 s8, s5, 0
	s_add_u32 s9, s4, 64
	s_addc_u32 s12, s5, 0
	s_waitcnt lgkmcnt(0)
	s_bitcmp1_b32 s11, 0
	s_cselect_b32 s1, s8, s1
	s_cselect_b32 s0, s7, s0
	v_mov_b32_e32 v1, s0
	v_mov_b32_e32 v2, s1
	flat_load_dwordx4 v[5:8], v[1:2]
	s_cselect_b32 s0, s12, s3
	s_cselect_b32 s1, s9, s2
	v_mov_b32_e32 v1, s1
	v_mov_b32_e32 v2, s0
	flat_load_dwordx4 v[1:4], v[1:2]
	s_waitcnt vmcnt(0) lgkmcnt(0)
	v_cmp_eq_f64_e32 vcc, 0, v[5:6]
	v_cmp_eq_f64_e64 s[0:1], 0, v[7:8]
	s_and_b64 s[8:9], vcc, s[0:1]
	s_mov_b64 s[0:1], -1
	s_and_saveexec_b64 s[2:3], s[8:9]
	s_cbranch_execz .LBB102_2
; %bb.1:
	v_cmp_neq_f64_e32 vcc, 1.0, v[1:2]
	v_cmp_neq_f64_e64 s[0:1], 0, v[3:4]
	s_or_b64 s[0:1], vcc, s[0:1]
	s_orn2_b64 s[0:1], s[0:1], exec
.LBB102_2:
	s_or_b64 exec, exec, s[2:3]
	s_and_saveexec_b64 s[2:3], s[0:1]
	s_cbranch_execz .LBB102_22
; %bb.3:
	s_load_dwordx2 s[0:1], s[4:5], 0x18
	s_ashr_i32 s7, s6, 31
	s_lshl_b64 s[2:3], s[6:7], 2
	s_waitcnt lgkmcnt(0)
	s_add_u32 s0, s0, s2
	s_addc_u32 s1, s1, s3
	s_load_dwordx2 s[14:15], s[0:1], 0x0
	s_waitcnt lgkmcnt(0)
	s_cmp_lt_i32 s14, s15
	s_cbranch_scc1 .LBB102_5
; %bb.4:
	s_mov_b64 s[0:1], 0
	s_branch .LBB102_6
.LBB102_5:
	s_mov_b64 s[0:1], -1
.LBB102_6:
	s_load_dwordx2 s[8:9], s[4:5], 0x50
	v_mov_b32_e32 v11, 0
	v_mov_b32_e32 v9, 0
	;; [unrolled: 1-line block ×3, first 2 shown]
	s_andn2_b64 vcc, exec, s[0:1]
	v_mov_b32_e32 v10, 0
	s_cbranch_vccnz .LBB102_11
; %bb.7:
	s_load_dwordx4 s[0:3], s[4:5], 0x20
	s_load_dwordx2 s[12:13], s[4:5], 0x38
	v_mad_u64_u32 v[9:10], s[4:5], s14, 9, v[0:1]
	s_mul_i32 s4, s10, 9
	v_mov_b32_e32 v11, 0
	v_subrev_u32_e32 v13, s4, v9
	v_mov_b32_e32 v12, 0
	v_mov_b32_e32 v9, v11
	s_sub_i32 s7, s15, s10
	s_sub_i32 s11, s14, s10
	v_mul_u32_u24_e32 v17, 0x1c72, v0
	v_mov_b32_e32 v14, 0
	v_mov_b32_e32 v10, v12
	s_branch .LBB102_9
.LBB102_8:                              ;   in Loop: Header=BB102_9 Depth=1
	s_or_b64 exec, exec, s[4:5]
	s_add_i32 s11, s11, 7
	s_cmp_ge_i32 s11, s7
	v_add_u32_e32 v13, 63, v13
	s_cbranch_scc1 .LBB102_11
.LBB102_9:                              ; =>This Inner Loop Header: Depth=1
	v_add_u32_sdwa v15, v17, s11 dst_sel:DWORD dst_unused:UNUSED_PAD src0_sel:WORD_1 src1_sel:DWORD
	v_cmp_gt_i32_e32 vcc, s7, v15
	s_and_saveexec_b64 s[4:5], vcc
	s_cbranch_execz .LBB102_8
; %bb.10:                               ;   in Loop: Header=BB102_9 Depth=1
	v_ashrrev_i32_e32 v16, 31, v15
	v_lshlrev_b64 v[15:16], 2, v[15:16]
	s_waitcnt lgkmcnt(0)
	v_mov_b32_e32 v18, s1
	v_add_co_u32_e32 v15, vcc, s0, v15
	v_addc_co_u32_e32 v16, vcc, v18, v16, vcc
	global_load_dword v22, v[15:16], off
	v_lshlrev_b64 v[15:16], 4, v[13:14]
	v_mov_b32_e32 v18, s3
	v_add_co_u32_e32 v15, vcc, s2, v15
	v_addc_co_u32_e32 v16, vcc, v18, v16, vcc
	global_load_dwordx4 v[18:21], v[15:16], off
	v_mov_b32_e32 v23, s13
	s_waitcnt vmcnt(1)
	v_subrev_u32_e32 v15, s10, v22
	v_ashrrev_i32_e32 v16, 31, v15
	v_lshlrev_b64 v[15:16], 4, v[15:16]
	v_add_co_u32_e32 v15, vcc, s12, v15
	v_addc_co_u32_e32 v16, vcc, v23, v16, vcc
	global_load_dwordx4 v[22:25], v[15:16], off
	s_waitcnt vmcnt(0)
	v_fma_f64 v[9:10], v[18:19], v[22:23], v[9:10]
	v_fma_f64 v[11:12], v[20:21], v[22:23], v[11:12]
	v_fma_f64 v[9:10], -v[20:21], v[24:25], v[9:10]
	v_fma_f64 v[11:12], v[18:19], v[24:25], v[11:12]
	s_branch .LBB102_8
.LBB102_11:
	v_lshlrev_b32_e32 v13, 4, v0
	v_cmp_gt_u32_e32 vcc, 27, v0
	ds_write_b128 v13, v[9:12]
	s_waitcnt lgkmcnt(0)
	; wave barrier
	s_and_saveexec_b64 s[0:1], vcc
	s_cbranch_execz .LBB102_13
; %bb.12:
	ds_read_b128 v[9:12], v13 offset:576
	ds_read_b128 v[14:17], v13
	s_waitcnt lgkmcnt(0)
	v_add_f64 v[9:10], v[9:10], v[14:15]
	v_add_f64 v[11:12], v[11:12], v[16:17]
	ds_write_b128 v13, v[9:12]
.LBB102_13:
	s_or_b64 exec, exec, s[0:1]
	v_cmp_gt_u32_e32 vcc, 18, v0
	s_waitcnt lgkmcnt(0)
	; wave barrier
	s_and_saveexec_b64 s[0:1], vcc
	s_cbranch_execz .LBB102_15
; %bb.14:
	ds_read_b128 v[9:12], v13 offset:288
	ds_read_b128 v[14:17], v13
	s_waitcnt lgkmcnt(0)
	v_add_f64 v[9:10], v[9:10], v[14:15]
	v_add_f64 v[11:12], v[11:12], v[16:17]
	ds_write_b128 v13, v[9:12]
.LBB102_15:
	s_or_b64 exec, exec, s[0:1]
	v_cmp_gt_u32_e32 vcc, 9, v0
	s_waitcnt lgkmcnt(0)
	; wave barrier
	s_and_saveexec_b64 s[0:1], vcc
	s_cbranch_execz .LBB102_17
; %bb.16:
	ds_read_b128 v[9:12], v13 offset:144
	ds_read_b128 v[14:17], v13
	s_waitcnt lgkmcnt(0)
	v_add_f64 v[9:10], v[9:10], v[14:15]
	v_add_f64 v[11:12], v[11:12], v[16:17]
	ds_write_b128 v13, v[9:12]
.LBB102_17:
	s_or_b64 exec, exec, s[0:1]
	s_waitcnt lgkmcnt(0)
	; wave barrier
	s_and_b64 exec, exec, vcc
	s_cbranch_execz .LBB102_22
; %bb.18:
	ds_read_b128 v[9:12], v13
	v_cmp_eq_f64_e32 vcc, 0, v[1:2]
	v_cmp_eq_f64_e64 s[0:1], 0, v[3:4]
	s_waitcnt lgkmcnt(0)
	v_mul_f64 v[13:14], v[11:12], -v[7:8]
	v_mul_f64 v[11:12], v[5:6], v[11:12]
	s_and_b64 s[0:1], vcc, s[0:1]
	v_fma_f64 v[5:6], v[5:6], v[9:10], v[13:14]
	v_fma_f64 v[7:8], v[7:8], v[9:10], v[11:12]
	s_and_saveexec_b64 s[2:3], s[0:1]
	s_xor_b64 s[0:1], exec, s[2:3]
	s_cbranch_execz .LBB102_20
; %bb.19:
	v_mad_u64_u32 v[0:1], s[2:3], s6, 9, v[0:1]
	v_mov_b32_e32 v1, 0
	v_mov_b32_e32 v2, s9
	v_lshlrev_b64 v[0:1], 4, v[0:1]
	v_add_co_u32_e32 v0, vcc, s8, v0
	v_addc_co_u32_e32 v1, vcc, v2, v1, vcc
	global_store_dwordx4 v[0:1], v[5:8], off
                                        ; implicit-def: $vgpr0
                                        ; implicit-def: $vgpr1_vgpr2
                                        ; implicit-def: $vgpr5_vgpr6
.LBB102_20:
	s_andn2_saveexec_b64 s[0:1], s[0:1]
	s_cbranch_execz .LBB102_22
; %bb.21:
	v_mad_u64_u32 v[9:10], s[0:1], s6, 9, v[0:1]
	v_mov_b32_e32 v10, 0
	v_mov_b32_e32 v0, s9
	v_lshlrev_b64 v[9:10], 4, v[9:10]
	v_add_co_u32_e32 v13, vcc, s8, v9
	v_addc_co_u32_e32 v14, vcc, v0, v10, vcc
	global_load_dwordx4 v[9:12], v[13:14], off
	s_waitcnt vmcnt(0)
	v_fma_f64 v[5:6], v[1:2], v[9:10], v[5:6]
	v_fma_f64 v[7:8], v[3:4], v[9:10], v[7:8]
	v_fma_f64 v[3:4], -v[3:4], v[11:12], v[5:6]
	v_fma_f64 v[5:6], v[1:2], v[11:12], v[7:8]
	global_store_dwordx4 v[13:14], v[3:6], off
.LBB102_22:
	s_endpgm
	.section	.rodata,"a",@progbits
	.p2align	6, 0x0
	.amdhsa_kernel _ZN9rocsparseL22gebsrmvn_mxn_16_kernelILj63ELj9ELj1E21rocsparse_complex_numIdEEEvi20rocsparse_direction_NS_24const_host_device_scalarIT2_EEPKiS8_PKS5_iiSA_S6_PS5_21rocsparse_index_base_b
		.amdhsa_group_segment_fixed_size 1008
		.amdhsa_private_segment_fixed_size 0
		.amdhsa_kernarg_size 96
		.amdhsa_user_sgpr_count 6
		.amdhsa_user_sgpr_private_segment_buffer 1
		.amdhsa_user_sgpr_dispatch_ptr 0
		.amdhsa_user_sgpr_queue_ptr 0
		.amdhsa_user_sgpr_kernarg_segment_ptr 1
		.amdhsa_user_sgpr_dispatch_id 0
		.amdhsa_user_sgpr_flat_scratch_init 0
		.amdhsa_user_sgpr_private_segment_size 0
		.amdhsa_uses_dynamic_stack 0
		.amdhsa_system_sgpr_private_segment_wavefront_offset 0
		.amdhsa_system_sgpr_workgroup_id_x 1
		.amdhsa_system_sgpr_workgroup_id_y 0
		.amdhsa_system_sgpr_workgroup_id_z 0
		.amdhsa_system_sgpr_workgroup_info 0
		.amdhsa_system_vgpr_workitem_id 0
		.amdhsa_next_free_vgpr 26
		.amdhsa_next_free_sgpr 16
		.amdhsa_reserve_vcc 1
		.amdhsa_reserve_flat_scratch 0
		.amdhsa_float_round_mode_32 0
		.amdhsa_float_round_mode_16_64 0
		.amdhsa_float_denorm_mode_32 3
		.amdhsa_float_denorm_mode_16_64 3
		.amdhsa_dx10_clamp 1
		.amdhsa_ieee_mode 1
		.amdhsa_fp16_overflow 0
		.amdhsa_exception_fp_ieee_invalid_op 0
		.amdhsa_exception_fp_denorm_src 0
		.amdhsa_exception_fp_ieee_div_zero 0
		.amdhsa_exception_fp_ieee_overflow 0
		.amdhsa_exception_fp_ieee_underflow 0
		.amdhsa_exception_fp_ieee_inexact 0
		.amdhsa_exception_int_div_zero 0
	.end_amdhsa_kernel
	.section	.text._ZN9rocsparseL22gebsrmvn_mxn_16_kernelILj63ELj9ELj1E21rocsparse_complex_numIdEEEvi20rocsparse_direction_NS_24const_host_device_scalarIT2_EEPKiS8_PKS5_iiSA_S6_PS5_21rocsparse_index_base_b,"axG",@progbits,_ZN9rocsparseL22gebsrmvn_mxn_16_kernelILj63ELj9ELj1E21rocsparse_complex_numIdEEEvi20rocsparse_direction_NS_24const_host_device_scalarIT2_EEPKiS8_PKS5_iiSA_S6_PS5_21rocsparse_index_base_b,comdat
.Lfunc_end102:
	.size	_ZN9rocsparseL22gebsrmvn_mxn_16_kernelILj63ELj9ELj1E21rocsparse_complex_numIdEEEvi20rocsparse_direction_NS_24const_host_device_scalarIT2_EEPKiS8_PKS5_iiSA_S6_PS5_21rocsparse_index_base_b, .Lfunc_end102-_ZN9rocsparseL22gebsrmvn_mxn_16_kernelILj63ELj9ELj1E21rocsparse_complex_numIdEEEvi20rocsparse_direction_NS_24const_host_device_scalarIT2_EEPKiS8_PKS5_iiSA_S6_PS5_21rocsparse_index_base_b
                                        ; -- End function
	.set _ZN9rocsparseL22gebsrmvn_mxn_16_kernelILj63ELj9ELj1E21rocsparse_complex_numIdEEEvi20rocsparse_direction_NS_24const_host_device_scalarIT2_EEPKiS8_PKS5_iiSA_S6_PS5_21rocsparse_index_base_b.num_vgpr, 26
	.set _ZN9rocsparseL22gebsrmvn_mxn_16_kernelILj63ELj9ELj1E21rocsparse_complex_numIdEEEvi20rocsparse_direction_NS_24const_host_device_scalarIT2_EEPKiS8_PKS5_iiSA_S6_PS5_21rocsparse_index_base_b.num_agpr, 0
	.set _ZN9rocsparseL22gebsrmvn_mxn_16_kernelILj63ELj9ELj1E21rocsparse_complex_numIdEEEvi20rocsparse_direction_NS_24const_host_device_scalarIT2_EEPKiS8_PKS5_iiSA_S6_PS5_21rocsparse_index_base_b.numbered_sgpr, 16
	.set _ZN9rocsparseL22gebsrmvn_mxn_16_kernelILj63ELj9ELj1E21rocsparse_complex_numIdEEEvi20rocsparse_direction_NS_24const_host_device_scalarIT2_EEPKiS8_PKS5_iiSA_S6_PS5_21rocsparse_index_base_b.num_named_barrier, 0
	.set _ZN9rocsparseL22gebsrmvn_mxn_16_kernelILj63ELj9ELj1E21rocsparse_complex_numIdEEEvi20rocsparse_direction_NS_24const_host_device_scalarIT2_EEPKiS8_PKS5_iiSA_S6_PS5_21rocsparse_index_base_b.private_seg_size, 0
	.set _ZN9rocsparseL22gebsrmvn_mxn_16_kernelILj63ELj9ELj1E21rocsparse_complex_numIdEEEvi20rocsparse_direction_NS_24const_host_device_scalarIT2_EEPKiS8_PKS5_iiSA_S6_PS5_21rocsparse_index_base_b.uses_vcc, 1
	.set _ZN9rocsparseL22gebsrmvn_mxn_16_kernelILj63ELj9ELj1E21rocsparse_complex_numIdEEEvi20rocsparse_direction_NS_24const_host_device_scalarIT2_EEPKiS8_PKS5_iiSA_S6_PS5_21rocsparse_index_base_b.uses_flat_scratch, 0
	.set _ZN9rocsparseL22gebsrmvn_mxn_16_kernelILj63ELj9ELj1E21rocsparse_complex_numIdEEEvi20rocsparse_direction_NS_24const_host_device_scalarIT2_EEPKiS8_PKS5_iiSA_S6_PS5_21rocsparse_index_base_b.has_dyn_sized_stack, 0
	.set _ZN9rocsparseL22gebsrmvn_mxn_16_kernelILj63ELj9ELj1E21rocsparse_complex_numIdEEEvi20rocsparse_direction_NS_24const_host_device_scalarIT2_EEPKiS8_PKS5_iiSA_S6_PS5_21rocsparse_index_base_b.has_recursion, 0
	.set _ZN9rocsparseL22gebsrmvn_mxn_16_kernelILj63ELj9ELj1E21rocsparse_complex_numIdEEEvi20rocsparse_direction_NS_24const_host_device_scalarIT2_EEPKiS8_PKS5_iiSA_S6_PS5_21rocsparse_index_base_b.has_indirect_call, 0
	.section	.AMDGPU.csdata,"",@progbits
; Kernel info:
; codeLenInByte = 932
; TotalNumSgprs: 20
; NumVgprs: 26
; ScratchSize: 0
; MemoryBound: 0
; FloatMode: 240
; IeeeMode: 1
; LDSByteSize: 1008 bytes/workgroup (compile time only)
; SGPRBlocks: 2
; VGPRBlocks: 6
; NumSGPRsForWavesPerEU: 20
; NumVGPRsForWavesPerEU: 26
; Occupancy: 9
; WaveLimiterHint : 1
; COMPUTE_PGM_RSRC2:SCRATCH_EN: 0
; COMPUTE_PGM_RSRC2:USER_SGPR: 6
; COMPUTE_PGM_RSRC2:TRAP_HANDLER: 0
; COMPUTE_PGM_RSRC2:TGID_X_EN: 1
; COMPUTE_PGM_RSRC2:TGID_Y_EN: 0
; COMPUTE_PGM_RSRC2:TGID_Z_EN: 0
; COMPUTE_PGM_RSRC2:TIDIG_COMP_CNT: 0
	.section	.text._ZN9rocsparseL22gebsrmvn_mxn_16_kernelILj54ELj9ELj2E21rocsparse_complex_numIdEEEvi20rocsparse_direction_NS_24const_host_device_scalarIT2_EEPKiS8_PKS5_iiSA_S6_PS5_21rocsparse_index_base_b,"axG",@progbits,_ZN9rocsparseL22gebsrmvn_mxn_16_kernelILj54ELj9ELj2E21rocsparse_complex_numIdEEEvi20rocsparse_direction_NS_24const_host_device_scalarIT2_EEPKiS8_PKS5_iiSA_S6_PS5_21rocsparse_index_base_b,comdat
	.globl	_ZN9rocsparseL22gebsrmvn_mxn_16_kernelILj54ELj9ELj2E21rocsparse_complex_numIdEEEvi20rocsparse_direction_NS_24const_host_device_scalarIT2_EEPKiS8_PKS5_iiSA_S6_PS5_21rocsparse_index_base_b ; -- Begin function _ZN9rocsparseL22gebsrmvn_mxn_16_kernelILj54ELj9ELj2E21rocsparse_complex_numIdEEEvi20rocsparse_direction_NS_24const_host_device_scalarIT2_EEPKiS8_PKS5_iiSA_S6_PS5_21rocsparse_index_base_b
	.p2align	8
	.type	_ZN9rocsparseL22gebsrmvn_mxn_16_kernelILj54ELj9ELj2E21rocsparse_complex_numIdEEEvi20rocsparse_direction_NS_24const_host_device_scalarIT2_EEPKiS8_PKS5_iiSA_S6_PS5_21rocsparse_index_base_b,@function
_ZN9rocsparseL22gebsrmvn_mxn_16_kernelILj54ELj9ELj2E21rocsparse_complex_numIdEEEvi20rocsparse_direction_NS_24const_host_device_scalarIT2_EEPKiS8_PKS5_iiSA_S6_PS5_21rocsparse_index_base_b: ; @_ZN9rocsparseL22gebsrmvn_mxn_16_kernelILj54ELj9ELj2E21rocsparse_complex_numIdEEEvi20rocsparse_direction_NS_24const_host_device_scalarIT2_EEPKiS8_PKS5_iiSA_S6_PS5_21rocsparse_index_base_b
; %bb.0:
	s_load_dwordx2 s[0:1], s[4:5], 0x8
	s_load_dwordx2 s[2:3], s[4:5], 0x40
	;; [unrolled: 1-line block ×3, first 2 shown]
	s_add_u32 s7, s4, 8
	s_addc_u32 s8, s5, 0
	s_add_u32 s9, s4, 64
	s_addc_u32 s10, s5, 0
	s_waitcnt lgkmcnt(0)
	s_bitcmp1_b32 s13, 0
	s_cselect_b32 s1, s8, s1
	s_cselect_b32 s0, s7, s0
	v_mov_b32_e32 v1, s0
	v_mov_b32_e32 v2, s1
	flat_load_dwordx4 v[5:8], v[1:2]
	s_cselect_b32 s0, s10, s3
	s_cselect_b32 s1, s9, s2
	v_mov_b32_e32 v1, s1
	v_mov_b32_e32 v2, s0
	flat_load_dwordx4 v[1:4], v[1:2]
	s_waitcnt vmcnt(0) lgkmcnt(0)
	v_cmp_eq_f64_e32 vcc, 0, v[5:6]
	v_cmp_eq_f64_e64 s[0:1], 0, v[7:8]
	s_and_b64 s[8:9], vcc, s[0:1]
	s_mov_b64 s[0:1], -1
	s_and_saveexec_b64 s[2:3], s[8:9]
	s_cbranch_execz .LBB103_2
; %bb.1:
	v_cmp_neq_f64_e32 vcc, 1.0, v[1:2]
	v_cmp_neq_f64_e64 s[0:1], 0, v[3:4]
	s_or_b64 s[0:1], vcc, s[0:1]
	s_orn2_b64 s[0:1], s[0:1], exec
.LBB103_2:
	s_or_b64 exec, exec, s[2:3]
	s_and_saveexec_b64 s[2:3], s[0:1]
	s_cbranch_execz .LBB103_31
; %bb.3:
	s_load_dword s2, s[4:5], 0x4
	s_load_dwordx2 s[0:1], s[4:5], 0x18
	v_and_b32_e32 v17, 1, v0
	v_mov_b32_e32 v18, v17
	s_waitcnt lgkmcnt(0)
	s_cmp_lg_u32 s2, 1
	s_cselect_b64 s[10:11], -1, 0
	s_and_b64 vcc, exec, s[10:11]
	s_cbranch_vccnz .LBB103_5
; %bb.4:
	v_mul_u32_u24_e32 v9, 0x1c72, v0
	v_bfe_u32 v18, v9, 16, 1
.LBB103_5:
	s_ashr_i32 s7, s6, 31
	s_lshl_b64 s[2:3], s[6:7], 2
	s_add_u32 s0, s0, s2
	s_addc_u32 s1, s1, s3
	s_load_dwordx2 s[16:17], s[0:1], 0x0
	s_load_dwordx2 s[8:9], s[4:5], 0x50
	v_mov_b32_e32 v11, 0
	v_mov_b32_e32 v9, 0
	;; [unrolled: 1-line block ×3, first 2 shown]
	s_waitcnt lgkmcnt(0)
	s_cmp_ge_i32 s16, s17
	v_mov_b32_e32 v10, 0
	s_cbranch_scc1 .LBB103_10
; %bb.6:
	s_load_dwordx4 s[0:3], s[4:5], 0x20
	s_load_dwordx2 s[14:15], s[4:5], 0x38
	v_mad_u64_u32 v[9:10], s[4:5], s16, 18, v[0:1]
	s_mul_i32 s4, s12, 18
	v_mov_b32_e32 v11, 0
	v_subrev_u32_e32 v13, s4, v9
	v_mov_b32_e32 v12, 0
	v_mov_b32_e32 v9, v11
	s_sub_i32 s7, s17, s12
	s_sub_i32 s13, s16, s12
	v_mul_u32_u24_e32 v19, 0xe39, v0
	v_mov_b32_e32 v14, 0
	v_mov_b32_e32 v10, v12
	s_branch .LBB103_8
.LBB103_7:                              ;   in Loop: Header=BB103_8 Depth=1
	s_or_b64 exec, exec, s[4:5]
	s_add_i32 s13, s13, 3
	s_cmp_ge_i32 s13, s7
	v_add_u32_e32 v13, 54, v13
	s_cbranch_scc1 .LBB103_10
.LBB103_8:                              ; =>This Inner Loop Header: Depth=1
	v_add_u32_sdwa v15, v19, s13 dst_sel:DWORD dst_unused:UNUSED_PAD src0_sel:WORD_1 src1_sel:DWORD
	v_cmp_gt_i32_e32 vcc, s7, v15
	s_and_saveexec_b64 s[4:5], vcc
	s_cbranch_execz .LBB103_7
; %bb.9:                                ;   in Loop: Header=BB103_8 Depth=1
	v_ashrrev_i32_e32 v16, 31, v15
	v_lshlrev_b64 v[15:16], 2, v[15:16]
	s_waitcnt lgkmcnt(0)
	v_mov_b32_e32 v20, s1
	v_add_co_u32_e32 v15, vcc, s0, v15
	v_addc_co_u32_e32 v16, vcc, v20, v16, vcc
	global_load_dword v24, v[15:16], off
	v_lshlrev_b64 v[15:16], 4, v[13:14]
	v_mov_b32_e32 v20, s3
	v_add_co_u32_e32 v15, vcc, s2, v15
	v_addc_co_u32_e32 v16, vcc, v20, v16, vcc
	global_load_dwordx4 v[20:23], v[15:16], off
	v_mov_b32_e32 v25, s15
	s_waitcnt vmcnt(1)
	v_subrev_u32_e32 v15, s12, v24
	v_lshl_or_b32 v15, v15, 1, v18
	v_ashrrev_i32_e32 v16, 31, v15
	v_lshlrev_b64 v[15:16], 4, v[15:16]
	v_add_co_u32_e32 v15, vcc, s14, v15
	v_addc_co_u32_e32 v16, vcc, v25, v16, vcc
	global_load_dwordx4 v[24:27], v[15:16], off
	s_waitcnt vmcnt(0)
	v_fma_f64 v[9:10], v[20:21], v[24:25], v[9:10]
	v_fma_f64 v[11:12], v[22:23], v[24:25], v[11:12]
	v_fma_f64 v[9:10], -v[22:23], v[26:27], v[9:10]
	v_fma_f64 v[11:12], v[20:21], v[26:27], v[11:12]
	s_branch .LBB103_7
.LBB103_10:
	v_lshlrev_b32_e32 v18, 4, v0
	v_cmp_gt_u32_e32 vcc, 18, v0
	ds_write_b128 v18, v[9:12]
	s_waitcnt lgkmcnt(0)
	; wave barrier
	s_and_saveexec_b64 s[0:1], vcc
	s_cbranch_execz .LBB103_12
; %bb.11:
	ds_read_b128 v[13:16], v18 offset:576
	ds_read_b128 v[19:22], v18
	s_waitcnt lgkmcnt(0)
	v_add_f64 v[13:14], v[13:14], v[19:20]
	v_add_f64 v[15:16], v[15:16], v[21:22]
	ds_write_b128 v18, v[13:16]
.LBB103_12:
	s_or_b64 exec, exec, s[0:1]
	s_waitcnt lgkmcnt(0)
	; wave barrier
	s_and_saveexec_b64 s[0:1], vcc
	s_cbranch_execz .LBB103_14
; %bb.13:
	ds_read_b128 v[13:16], v18 offset:288
	ds_read_b128 v[19:22], v18
	s_waitcnt lgkmcnt(0)
	v_add_f64 v[13:14], v[13:14], v[19:20]
	v_add_f64 v[15:16], v[15:16], v[21:22]
	ds_write_b128 v18, v[13:16]
.LBB103_14:
	s_or_b64 exec, exec, s[0:1]
	s_and_b64 vcc, exec, s[10:11]
	s_waitcnt lgkmcnt(0)
	; wave barrier
	s_cbranch_vccz .LBB103_20
; %bb.15:
	v_cmp_eq_u32_e32 vcc, 0, v17
	s_and_saveexec_b64 s[0:1], vcc
	s_cbranch_execz .LBB103_17
; %bb.16:
	ds_read_b128 v[13:16], v18
	ds_read_b128 v[19:22], v18 offset:16
	s_waitcnt lgkmcnt(0)
	v_add_f64 v[13:14], v[19:20], v[13:14]
	v_add_f64 v[15:16], v[21:22], v[15:16]
	ds_write_b128 v18, v[13:16]
.LBB103_17:
	s_or_b64 exec, exec, s[0:1]
	v_mov_b32_e32 v16, v12
	v_mov_b32_e32 v14, v10
	v_cmp_gt_u32_e32 vcc, 9, v0
	v_mov_b32_e32 v15, v11
	v_mov_b32_e32 v13, v9
	s_waitcnt lgkmcnt(0)
	; wave barrier
	s_and_saveexec_b64 s[0:1], vcc
; %bb.18:
	v_lshl_add_u32 v13, v0, 4, v18
	ds_read_b128 v[13:16], v13
; %bb.19:
	s_or_b64 exec, exec, s[0:1]
	s_branch .LBB103_26
.LBB103_20:
                                        ; implicit-def: $vgpr15_vgpr16
	s_cbranch_execz .LBB103_26
; %bb.21:
	v_cmp_lt_u32_e32 vcc, 8, v0
	s_and_saveexec_b64 s[0:1], vcc
	s_xor_b64 s[0:1], exec, s[0:1]
	s_cbranch_execz .LBB103_23
; %bb.22:
	s_waitcnt lgkmcnt(0)
                                        ; implicit-def: $vgpr18
.LBB103_23:
	s_andn2_saveexec_b64 s[0:1], s[0:1]
	s_cbranch_execz .LBB103_25
; %bb.24:
	ds_read_b128 v[9:12], v18 offset:144
	s_waitcnt lgkmcnt(1)
	ds_read_b128 v[13:16], v18
	s_waitcnt lgkmcnt(0)
	v_add_f64 v[9:10], v[9:10], v[13:14]
	v_add_f64 v[11:12], v[11:12], v[15:16]
	ds_write_b128 v18, v[9:12]
	s_waitcnt lgkmcnt(0)
	ds_read_b128 v[9:12], v18
.LBB103_25:
	s_or_b64 exec, exec, s[0:1]
	s_waitcnt lgkmcnt(0)
	v_mov_b32_e32 v14, v10
	v_mov_b32_e32 v16, v12
	;; [unrolled: 1-line block ×4, first 2 shown]
.LBB103_26:
	v_cmp_gt_u32_e32 vcc, 9, v0
	s_and_b64 exec, exec, vcc
	s_cbranch_execz .LBB103_31
; %bb.27:
	s_waitcnt lgkmcnt(0)
	v_mul_f64 v[9:10], v[15:16], -v[7:8]
	v_mul_f64 v[11:12], v[5:6], v[15:16]
	v_cmp_eq_f64_e32 vcc, 0, v[1:2]
	v_cmp_eq_f64_e64 s[0:1], 0, v[3:4]
	v_fma_f64 v[5:6], v[5:6], v[13:14], v[9:10]
	v_fma_f64 v[7:8], v[7:8], v[13:14], v[11:12]
	s_and_b64 s[0:1], vcc, s[0:1]
	s_and_saveexec_b64 s[2:3], s[0:1]
	s_xor_b64 s[0:1], exec, s[2:3]
	s_cbranch_execz .LBB103_29
; %bb.28:
	v_mad_u64_u32 v[0:1], s[2:3], s6, 9, v[0:1]
	v_mov_b32_e32 v1, 0
	v_mov_b32_e32 v2, s9
	v_lshlrev_b64 v[0:1], 4, v[0:1]
	v_add_co_u32_e32 v0, vcc, s8, v0
	v_addc_co_u32_e32 v1, vcc, v2, v1, vcc
	global_store_dwordx4 v[0:1], v[5:8], off
                                        ; implicit-def: $vgpr0
                                        ; implicit-def: $vgpr1_vgpr2
                                        ; implicit-def: $vgpr5_vgpr6
.LBB103_29:
	s_andn2_saveexec_b64 s[0:1], s[0:1]
	s_cbranch_execz .LBB103_31
; %bb.30:
	v_mad_u64_u32 v[9:10], s[0:1], s6, 9, v[0:1]
	v_mov_b32_e32 v10, 0
	v_mov_b32_e32 v0, s9
	v_lshlrev_b64 v[9:10], 4, v[9:10]
	v_add_co_u32_e32 v13, vcc, s8, v9
	v_addc_co_u32_e32 v14, vcc, v0, v10, vcc
	global_load_dwordx4 v[9:12], v[13:14], off
	s_waitcnt vmcnt(0)
	v_fma_f64 v[5:6], v[1:2], v[9:10], v[5:6]
	v_fma_f64 v[7:8], v[3:4], v[9:10], v[7:8]
	v_fma_f64 v[3:4], -v[3:4], v[11:12], v[5:6]
	v_fma_f64 v[5:6], v[1:2], v[11:12], v[7:8]
	global_store_dwordx4 v[13:14], v[3:6], off
.LBB103_31:
	s_endpgm
	.section	.rodata,"a",@progbits
	.p2align	6, 0x0
	.amdhsa_kernel _ZN9rocsparseL22gebsrmvn_mxn_16_kernelILj54ELj9ELj2E21rocsparse_complex_numIdEEEvi20rocsparse_direction_NS_24const_host_device_scalarIT2_EEPKiS8_PKS5_iiSA_S6_PS5_21rocsparse_index_base_b
		.amdhsa_group_segment_fixed_size 864
		.amdhsa_private_segment_fixed_size 0
		.amdhsa_kernarg_size 96
		.amdhsa_user_sgpr_count 6
		.amdhsa_user_sgpr_private_segment_buffer 1
		.amdhsa_user_sgpr_dispatch_ptr 0
		.amdhsa_user_sgpr_queue_ptr 0
		.amdhsa_user_sgpr_kernarg_segment_ptr 1
		.amdhsa_user_sgpr_dispatch_id 0
		.amdhsa_user_sgpr_flat_scratch_init 0
		.amdhsa_user_sgpr_private_segment_size 0
		.amdhsa_uses_dynamic_stack 0
		.amdhsa_system_sgpr_private_segment_wavefront_offset 0
		.amdhsa_system_sgpr_workgroup_id_x 1
		.amdhsa_system_sgpr_workgroup_id_y 0
		.amdhsa_system_sgpr_workgroup_id_z 0
		.amdhsa_system_sgpr_workgroup_info 0
		.amdhsa_system_vgpr_workitem_id 0
		.amdhsa_next_free_vgpr 28
		.amdhsa_next_free_sgpr 18
		.amdhsa_reserve_vcc 1
		.amdhsa_reserve_flat_scratch 0
		.amdhsa_float_round_mode_32 0
		.amdhsa_float_round_mode_16_64 0
		.amdhsa_float_denorm_mode_32 3
		.amdhsa_float_denorm_mode_16_64 3
		.amdhsa_dx10_clamp 1
		.amdhsa_ieee_mode 1
		.amdhsa_fp16_overflow 0
		.amdhsa_exception_fp_ieee_invalid_op 0
		.amdhsa_exception_fp_denorm_src 0
		.amdhsa_exception_fp_ieee_div_zero 0
		.amdhsa_exception_fp_ieee_overflow 0
		.amdhsa_exception_fp_ieee_underflow 0
		.amdhsa_exception_fp_ieee_inexact 0
		.amdhsa_exception_int_div_zero 0
	.end_amdhsa_kernel
	.section	.text._ZN9rocsparseL22gebsrmvn_mxn_16_kernelILj54ELj9ELj2E21rocsparse_complex_numIdEEEvi20rocsparse_direction_NS_24const_host_device_scalarIT2_EEPKiS8_PKS5_iiSA_S6_PS5_21rocsparse_index_base_b,"axG",@progbits,_ZN9rocsparseL22gebsrmvn_mxn_16_kernelILj54ELj9ELj2E21rocsparse_complex_numIdEEEvi20rocsparse_direction_NS_24const_host_device_scalarIT2_EEPKiS8_PKS5_iiSA_S6_PS5_21rocsparse_index_base_b,comdat
.Lfunc_end103:
	.size	_ZN9rocsparseL22gebsrmvn_mxn_16_kernelILj54ELj9ELj2E21rocsparse_complex_numIdEEEvi20rocsparse_direction_NS_24const_host_device_scalarIT2_EEPKiS8_PKS5_iiSA_S6_PS5_21rocsparse_index_base_b, .Lfunc_end103-_ZN9rocsparseL22gebsrmvn_mxn_16_kernelILj54ELj9ELj2E21rocsparse_complex_numIdEEEvi20rocsparse_direction_NS_24const_host_device_scalarIT2_EEPKiS8_PKS5_iiSA_S6_PS5_21rocsparse_index_base_b
                                        ; -- End function
	.set _ZN9rocsparseL22gebsrmvn_mxn_16_kernelILj54ELj9ELj2E21rocsparse_complex_numIdEEEvi20rocsparse_direction_NS_24const_host_device_scalarIT2_EEPKiS8_PKS5_iiSA_S6_PS5_21rocsparse_index_base_b.num_vgpr, 28
	.set _ZN9rocsparseL22gebsrmvn_mxn_16_kernelILj54ELj9ELj2E21rocsparse_complex_numIdEEEvi20rocsparse_direction_NS_24const_host_device_scalarIT2_EEPKiS8_PKS5_iiSA_S6_PS5_21rocsparse_index_base_b.num_agpr, 0
	.set _ZN9rocsparseL22gebsrmvn_mxn_16_kernelILj54ELj9ELj2E21rocsparse_complex_numIdEEEvi20rocsparse_direction_NS_24const_host_device_scalarIT2_EEPKiS8_PKS5_iiSA_S6_PS5_21rocsparse_index_base_b.numbered_sgpr, 18
	.set _ZN9rocsparseL22gebsrmvn_mxn_16_kernelILj54ELj9ELj2E21rocsparse_complex_numIdEEEvi20rocsparse_direction_NS_24const_host_device_scalarIT2_EEPKiS8_PKS5_iiSA_S6_PS5_21rocsparse_index_base_b.num_named_barrier, 0
	.set _ZN9rocsparseL22gebsrmvn_mxn_16_kernelILj54ELj9ELj2E21rocsparse_complex_numIdEEEvi20rocsparse_direction_NS_24const_host_device_scalarIT2_EEPKiS8_PKS5_iiSA_S6_PS5_21rocsparse_index_base_b.private_seg_size, 0
	.set _ZN9rocsparseL22gebsrmvn_mxn_16_kernelILj54ELj9ELj2E21rocsparse_complex_numIdEEEvi20rocsparse_direction_NS_24const_host_device_scalarIT2_EEPKiS8_PKS5_iiSA_S6_PS5_21rocsparse_index_base_b.uses_vcc, 1
	.set _ZN9rocsparseL22gebsrmvn_mxn_16_kernelILj54ELj9ELj2E21rocsparse_complex_numIdEEEvi20rocsparse_direction_NS_24const_host_device_scalarIT2_EEPKiS8_PKS5_iiSA_S6_PS5_21rocsparse_index_base_b.uses_flat_scratch, 0
	.set _ZN9rocsparseL22gebsrmvn_mxn_16_kernelILj54ELj9ELj2E21rocsparse_complex_numIdEEEvi20rocsparse_direction_NS_24const_host_device_scalarIT2_EEPKiS8_PKS5_iiSA_S6_PS5_21rocsparse_index_base_b.has_dyn_sized_stack, 0
	.set _ZN9rocsparseL22gebsrmvn_mxn_16_kernelILj54ELj9ELj2E21rocsparse_complex_numIdEEEvi20rocsparse_direction_NS_24const_host_device_scalarIT2_EEPKiS8_PKS5_iiSA_S6_PS5_21rocsparse_index_base_b.has_recursion, 0
	.set _ZN9rocsparseL22gebsrmvn_mxn_16_kernelILj54ELj9ELj2E21rocsparse_complex_numIdEEEvi20rocsparse_direction_NS_24const_host_device_scalarIT2_EEPKiS8_PKS5_iiSA_S6_PS5_21rocsparse_index_base_b.has_indirect_call, 0
	.section	.AMDGPU.csdata,"",@progbits
; Kernel info:
; codeLenInByte = 1132
; TotalNumSgprs: 22
; NumVgprs: 28
; ScratchSize: 0
; MemoryBound: 0
; FloatMode: 240
; IeeeMode: 1
; LDSByteSize: 864 bytes/workgroup (compile time only)
; SGPRBlocks: 2
; VGPRBlocks: 6
; NumSGPRsForWavesPerEU: 22
; NumVGPRsForWavesPerEU: 28
; Occupancy: 9
; WaveLimiterHint : 1
; COMPUTE_PGM_RSRC2:SCRATCH_EN: 0
; COMPUTE_PGM_RSRC2:USER_SGPR: 6
; COMPUTE_PGM_RSRC2:TRAP_HANDLER: 0
; COMPUTE_PGM_RSRC2:TGID_X_EN: 1
; COMPUTE_PGM_RSRC2:TGID_Y_EN: 0
; COMPUTE_PGM_RSRC2:TGID_Z_EN: 0
; COMPUTE_PGM_RSRC2:TIDIG_COMP_CNT: 0
	.section	.text._ZN9rocsparseL22gebsrmvn_mxn_16_kernelILj54ELj9ELj3E21rocsparse_complex_numIdEEEvi20rocsparse_direction_NS_24const_host_device_scalarIT2_EEPKiS8_PKS5_iiSA_S6_PS5_21rocsparse_index_base_b,"axG",@progbits,_ZN9rocsparseL22gebsrmvn_mxn_16_kernelILj54ELj9ELj3E21rocsparse_complex_numIdEEEvi20rocsparse_direction_NS_24const_host_device_scalarIT2_EEPKiS8_PKS5_iiSA_S6_PS5_21rocsparse_index_base_b,comdat
	.globl	_ZN9rocsparseL22gebsrmvn_mxn_16_kernelILj54ELj9ELj3E21rocsparse_complex_numIdEEEvi20rocsparse_direction_NS_24const_host_device_scalarIT2_EEPKiS8_PKS5_iiSA_S6_PS5_21rocsparse_index_base_b ; -- Begin function _ZN9rocsparseL22gebsrmvn_mxn_16_kernelILj54ELj9ELj3E21rocsparse_complex_numIdEEEvi20rocsparse_direction_NS_24const_host_device_scalarIT2_EEPKiS8_PKS5_iiSA_S6_PS5_21rocsparse_index_base_b
	.p2align	8
	.type	_ZN9rocsparseL22gebsrmvn_mxn_16_kernelILj54ELj9ELj3E21rocsparse_complex_numIdEEEvi20rocsparse_direction_NS_24const_host_device_scalarIT2_EEPKiS8_PKS5_iiSA_S6_PS5_21rocsparse_index_base_b,@function
_ZN9rocsparseL22gebsrmvn_mxn_16_kernelILj54ELj9ELj3E21rocsparse_complex_numIdEEEvi20rocsparse_direction_NS_24const_host_device_scalarIT2_EEPKiS8_PKS5_iiSA_S6_PS5_21rocsparse_index_base_b: ; @_ZN9rocsparseL22gebsrmvn_mxn_16_kernelILj54ELj9ELj3E21rocsparse_complex_numIdEEEvi20rocsparse_direction_NS_24const_host_device_scalarIT2_EEPKiS8_PKS5_iiSA_S6_PS5_21rocsparse_index_base_b
; %bb.0:
	s_load_dwordx2 s[0:1], s[4:5], 0x8
	s_load_dwordx2 s[2:3], s[4:5], 0x40
	s_load_dwordx2 s[10:11], s[4:5], 0x58
	s_add_u32 s7, s4, 8
	s_addc_u32 s8, s5, 0
	s_add_u32 s9, s4, 64
	s_addc_u32 s12, s5, 0
	s_waitcnt lgkmcnt(0)
	s_bitcmp1_b32 s11, 0
	s_cselect_b32 s1, s8, s1
	s_cselect_b32 s0, s7, s0
	v_mov_b32_e32 v1, s0
	v_mov_b32_e32 v2, s1
	flat_load_dwordx4 v[5:8], v[1:2]
	s_cselect_b32 s0, s12, s3
	s_cselect_b32 s1, s9, s2
	v_mov_b32_e32 v1, s1
	v_mov_b32_e32 v2, s0
	flat_load_dwordx4 v[1:4], v[1:2]
	s_waitcnt vmcnt(0) lgkmcnt(0)
	v_cmp_eq_f64_e32 vcc, 0, v[5:6]
	v_cmp_eq_f64_e64 s[0:1], 0, v[7:8]
	s_and_b64 s[8:9], vcc, s[0:1]
	s_mov_b64 s[0:1], -1
	s_and_saveexec_b64 s[2:3], s[8:9]
	s_cbranch_execz .LBB104_2
; %bb.1:
	v_cmp_neq_f64_e32 vcc, 1.0, v[1:2]
	v_cmp_neq_f64_e64 s[0:1], 0, v[3:4]
	s_or_b64 s[0:1], vcc, s[0:1]
	s_orn2_b64 s[0:1], s[0:1], exec
.LBB104_2:
	s_or_b64 exec, exec, s[2:3]
	s_and_saveexec_b64 s[2:3], s[0:1]
	s_cbranch_execz .LBB104_33
; %bb.3:
	s_load_dwordx2 s[0:1], s[4:5], 0x18
	s_load_dword s2, s[4:5], 0x4
	v_mul_u32_u24_e32 v10, 0x5556, v0
	v_mov_b32_e32 v9, 3
	v_mul_lo_u16_sdwa v10, v10, v9 dst_sel:DWORD dst_unused:UNUSED_PAD src0_sel:WORD_1 src1_sel:DWORD
	v_sub_u16_e32 v18, v0, v10
	s_waitcnt lgkmcnt(0)
	s_cmp_lg_u32 s2, 1
	s_cselect_b64 s[12:13], -1, 0
	s_and_b64 vcc, exec, s[12:13]
	v_mov_b32_e32 v13, v18
	s_cbranch_vccnz .LBB104_5
; %bb.4:
	s_movk_i32 s2, 0x1c72
	v_mul_u32_u24_sdwa v10, v0, s2 dst_sel:DWORD dst_unused:UNUSED_PAD src0_sel:WORD_0 src1_sel:DWORD
	s_movk_i32 s2, 0x56
	v_mul_lo_u16_sdwa v11, v10, s2 dst_sel:DWORD dst_unused:UNUSED_PAD src0_sel:WORD_1 src1_sel:DWORD
	v_mul_lo_u16_sdwa v9, v11, v9 dst_sel:DWORD dst_unused:UNUSED_PAD src0_sel:BYTE_1 src1_sel:DWORD
	v_sub_u16_sdwa v9, v10, v9 dst_sel:DWORD dst_unused:UNUSED_PAD src0_sel:WORD_1 src1_sel:DWORD
	v_and_b32_e32 v13, 0xff, v9
.LBB104_5:
	s_ashr_i32 s7, s6, 31
	s_lshl_b64 s[2:3], s[6:7], 2
	s_add_u32 s0, s0, s2
	s_addc_u32 s1, s1, s3
	s_load_dwordx2 s[16:17], s[0:1], 0x0
	s_load_dwordx2 s[8:9], s[4:5], 0x50
	v_mov_b32_e32 v11, 0
	v_mov_b32_e32 v9, 0
	;; [unrolled: 1-line block ×3, first 2 shown]
	s_waitcnt lgkmcnt(0)
	s_cmp_ge_i32 s16, s17
	v_mov_b32_e32 v10, 0
	s_cbranch_scc1 .LBB104_10
; %bb.6:
	s_load_dwordx4 s[0:3], s[4:5], 0x20
	s_load_dwordx2 s[14:15], s[4:5], 0x38
	v_mad_u64_u32 v[9:10], s[4:5], s16, 27, v[0:1]
	s_movk_i32 s4, 0x97c
	v_mul_u32_u24_sdwa v19, v0, s4 dst_sel:DWORD dst_unused:UNUSED_PAD src0_sel:WORD_0 src1_sel:DWORD
	s_mul_i32 s4, s10, 27
	v_mov_b32_e32 v11, 0
	v_subrev_u32_e32 v14, s4, v9
	v_mov_b32_e32 v12, 0
	v_mov_b32_e32 v9, v11
	s_sub_i32 s7, s17, s10
	s_sub_i32 s11, s16, s10
	v_mov_b32_e32 v15, 0
	v_mov_b32_e32 v10, v12
	s_branch .LBB104_8
.LBB104_7:                              ;   in Loop: Header=BB104_8 Depth=1
	s_or_b64 exec, exec, s[4:5]
	s_add_i32 s11, s11, 2
	s_cmp_ge_i32 s11, s7
	v_add_u32_e32 v14, 54, v14
	s_cbranch_scc1 .LBB104_10
.LBB104_8:                              ; =>This Inner Loop Header: Depth=1
	v_add_u32_sdwa v16, v19, s11 dst_sel:DWORD dst_unused:UNUSED_PAD src0_sel:WORD_1 src1_sel:DWORD
	v_cmp_gt_i32_e32 vcc, s7, v16
	s_and_saveexec_b64 s[4:5], vcc
	s_cbranch_execz .LBB104_7
; %bb.9:                                ;   in Loop: Header=BB104_8 Depth=1
	v_ashrrev_i32_e32 v17, 31, v16
	v_lshlrev_b64 v[16:17], 2, v[16:17]
	s_waitcnt lgkmcnt(0)
	v_mov_b32_e32 v20, s1
	v_add_co_u32_e32 v16, vcc, s0, v16
	v_addc_co_u32_e32 v17, vcc, v20, v17, vcc
	global_load_dword v20, v[16:17], off
	v_lshlrev_b64 v[16:17], 4, v[14:15]
	v_mov_b32_e32 v21, s3
	v_add_co_u32_e32 v16, vcc, s2, v16
	v_addc_co_u32_e32 v17, vcc, v21, v17, vcc
	v_mov_b32_e32 v26, s15
	s_waitcnt vmcnt(0)
	v_subrev_u32_e32 v20, s10, v20
	v_mad_u64_u32 v[24:25], s[16:17], v20, 3, v[13:14]
	global_load_dwordx4 v[20:23], v[16:17], off
	v_ashrrev_i32_e32 v25, 31, v24
	v_lshlrev_b64 v[16:17], 4, v[24:25]
	v_add_co_u32_e32 v16, vcc, s14, v16
	v_addc_co_u32_e32 v17, vcc, v26, v17, vcc
	global_load_dwordx4 v[24:27], v[16:17], off
	s_waitcnt vmcnt(0)
	v_fma_f64 v[9:10], v[20:21], v[24:25], v[9:10]
	v_fma_f64 v[11:12], v[22:23], v[24:25], v[11:12]
	v_fma_f64 v[9:10], -v[22:23], v[26:27], v[9:10]
	v_fma_f64 v[11:12], v[20:21], v[26:27], v[11:12]
	s_branch .LBB104_7
.LBB104_10:
	v_lshlrev_b32_e32 v17, 4, v0
	v_cmp_gt_u32_e32 vcc, 27, v0
	ds_write_b128 v17, v[9:12]
	s_waitcnt lgkmcnt(0)
	; wave barrier
	s_and_saveexec_b64 s[0:1], vcc
	s_cbranch_execz .LBB104_12
; %bb.11:
	ds_read_b128 v[13:16], v17 offset:432
	ds_read_b128 v[19:22], v17
	s_waitcnt lgkmcnt(0)
	v_add_f64 v[13:14], v[13:14], v[19:20]
	v_add_f64 v[15:16], v[15:16], v[21:22]
	ds_write_b128 v17, v[13:16]
.LBB104_12:
	s_or_b64 exec, exec, s[0:1]
	s_and_b64 vcc, exec, s[12:13]
	s_waitcnt lgkmcnt(0)
	; wave barrier
	s_cbranch_vccz .LBB104_20
; %bb.13:
	v_cmp_eq_u16_e32 vcc, 0, v18
	s_and_saveexec_b64 s[0:1], vcc
	s_cbranch_execz .LBB104_15
; %bb.14:
	ds_read_b128 v[13:16], v17
	ds_read_b128 v[18:21], v17 offset:32
	s_waitcnt lgkmcnt(0)
	v_add_f64 v[13:14], v[18:19], v[13:14]
	v_add_f64 v[15:16], v[20:21], v[15:16]
	ds_write_b128 v17, v[13:16]
.LBB104_15:
	s_or_b64 exec, exec, s[0:1]
	s_waitcnt lgkmcnt(0)
	; wave barrier
	s_and_saveexec_b64 s[0:1], vcc
	s_cbranch_execz .LBB104_17
; %bb.16:
	ds_read_b128 v[13:16], v17
	ds_read_b128 v[18:21], v17 offset:16
	s_waitcnt lgkmcnt(0)
	v_add_f64 v[13:14], v[18:19], v[13:14]
	v_add_f64 v[15:16], v[20:21], v[15:16]
	ds_write_b128 v17, v[13:16]
.LBB104_17:
	s_or_b64 exec, exec, s[0:1]
	v_mov_b32_e32 v16, v12
	v_mov_b32_e32 v14, v10
	v_cmp_gt_u32_e32 vcc, 9, v0
	v_mov_b32_e32 v15, v11
	v_mov_b32_e32 v13, v9
	s_waitcnt lgkmcnt(0)
	; wave barrier
	s_and_saveexec_b64 s[0:1], vcc
; %bb.18:
	v_lshl_add_u32 v13, v0, 5, v17
	ds_read_b128 v[13:16], v13
; %bb.19:
	s_or_b64 exec, exec, s[0:1]
	v_cmp_gt_u32_e64 s[0:1], 9, v0
	s_branch .LBB104_28
.LBB104_20:
                                        ; implicit-def: $vgpr15_vgpr16
	v_cmp_gt_u32_e64 s[0:1], 9, v0
	s_cbranch_execz .LBB104_28
; %bb.21:
	v_cmp_lt_u32_e32 vcc, 8, v0
	s_and_saveexec_b64 s[2:3], s[0:1]
	s_cbranch_execz .LBB104_23
; %bb.22:
	s_waitcnt lgkmcnt(0)
	ds_read_b128 v[13:16], v17 offset:288
	ds_read_b128 v[18:21], v17
	s_waitcnt lgkmcnt(0)
	v_add_f64 v[13:14], v[13:14], v[18:19]
	v_add_f64 v[15:16], v[15:16], v[20:21]
	ds_write_b128 v17, v[13:16]
.LBB104_23:
	s_or_b64 exec, exec, s[2:3]
	s_waitcnt lgkmcnt(0)
	; wave barrier
	s_and_saveexec_b64 s[0:1], vcc
	s_xor_b64 s[0:1], exec, s[0:1]
; %bb.24:
                                        ; implicit-def: $vgpr17
; %bb.25:
	s_andn2_saveexec_b64 s[0:1], s[0:1]
	s_cbranch_execz .LBB104_27
; %bb.26:
	ds_read_b128 v[9:12], v17 offset:144
	ds_read_b128 v[13:16], v17
	s_waitcnt lgkmcnt(0)
	v_add_f64 v[9:10], v[9:10], v[13:14]
	v_add_f64 v[11:12], v[11:12], v[15:16]
	ds_write_b128 v17, v[9:12]
	s_waitcnt lgkmcnt(0)
	ds_read_b128 v[9:12], v17
.LBB104_27:
	s_or_b64 exec, exec, s[0:1]
	s_waitcnt lgkmcnt(0)
	v_mov_b32_e32 v16, v12
	v_mov_b32_e32 v14, v10
	;; [unrolled: 1-line block ×4, first 2 shown]
.LBB104_28:
	v_cmp_gt_u32_e32 vcc, 9, v0
	s_and_b64 exec, exec, vcc
	s_cbranch_execz .LBB104_33
; %bb.29:
	s_waitcnt lgkmcnt(0)
	v_mul_f64 v[9:10], v[15:16], -v[7:8]
	v_mul_f64 v[11:12], v[5:6], v[15:16]
	v_cmp_eq_f64_e32 vcc, 0, v[1:2]
	v_cmp_eq_f64_e64 s[0:1], 0, v[3:4]
	v_fma_f64 v[5:6], v[5:6], v[13:14], v[9:10]
	v_fma_f64 v[7:8], v[7:8], v[13:14], v[11:12]
	s_and_b64 s[0:1], vcc, s[0:1]
	s_and_saveexec_b64 s[2:3], s[0:1]
	s_xor_b64 s[0:1], exec, s[2:3]
	s_cbranch_execz .LBB104_31
; %bb.30:
	v_mad_u64_u32 v[0:1], s[2:3], s6, 9, v[0:1]
	v_mov_b32_e32 v1, 0
	v_mov_b32_e32 v2, s9
	v_lshlrev_b64 v[0:1], 4, v[0:1]
	v_add_co_u32_e32 v0, vcc, s8, v0
	v_addc_co_u32_e32 v1, vcc, v2, v1, vcc
	global_store_dwordx4 v[0:1], v[5:8], off
                                        ; implicit-def: $vgpr0
                                        ; implicit-def: $vgpr1_vgpr2
                                        ; implicit-def: $vgpr5_vgpr6
.LBB104_31:
	s_andn2_saveexec_b64 s[0:1], s[0:1]
	s_cbranch_execz .LBB104_33
; %bb.32:
	v_mad_u64_u32 v[9:10], s[0:1], s6, 9, v[0:1]
	v_mov_b32_e32 v10, 0
	v_mov_b32_e32 v0, s9
	v_lshlrev_b64 v[9:10], 4, v[9:10]
	v_add_co_u32_e32 v13, vcc, s8, v9
	v_addc_co_u32_e32 v14, vcc, v0, v10, vcc
	global_load_dwordx4 v[9:12], v[13:14], off
	s_waitcnt vmcnt(0)
	v_fma_f64 v[5:6], v[1:2], v[9:10], v[5:6]
	v_fma_f64 v[7:8], v[3:4], v[9:10], v[7:8]
	v_fma_f64 v[3:4], -v[3:4], v[11:12], v[5:6]
	v_fma_f64 v[5:6], v[1:2], v[11:12], v[7:8]
	global_store_dwordx4 v[13:14], v[3:6], off
.LBB104_33:
	s_endpgm
	.section	.rodata,"a",@progbits
	.p2align	6, 0x0
	.amdhsa_kernel _ZN9rocsparseL22gebsrmvn_mxn_16_kernelILj54ELj9ELj3E21rocsparse_complex_numIdEEEvi20rocsparse_direction_NS_24const_host_device_scalarIT2_EEPKiS8_PKS5_iiSA_S6_PS5_21rocsparse_index_base_b
		.amdhsa_group_segment_fixed_size 864
		.amdhsa_private_segment_fixed_size 0
		.amdhsa_kernarg_size 96
		.amdhsa_user_sgpr_count 6
		.amdhsa_user_sgpr_private_segment_buffer 1
		.amdhsa_user_sgpr_dispatch_ptr 0
		.amdhsa_user_sgpr_queue_ptr 0
		.amdhsa_user_sgpr_kernarg_segment_ptr 1
		.amdhsa_user_sgpr_dispatch_id 0
		.amdhsa_user_sgpr_flat_scratch_init 0
		.amdhsa_user_sgpr_private_segment_size 0
		.amdhsa_uses_dynamic_stack 0
		.amdhsa_system_sgpr_private_segment_wavefront_offset 0
		.amdhsa_system_sgpr_workgroup_id_x 1
		.amdhsa_system_sgpr_workgroup_id_y 0
		.amdhsa_system_sgpr_workgroup_id_z 0
		.amdhsa_system_sgpr_workgroup_info 0
		.amdhsa_system_vgpr_workitem_id 0
		.amdhsa_next_free_vgpr 28
		.amdhsa_next_free_sgpr 18
		.amdhsa_reserve_vcc 1
		.amdhsa_reserve_flat_scratch 0
		.amdhsa_float_round_mode_32 0
		.amdhsa_float_round_mode_16_64 0
		.amdhsa_float_denorm_mode_32 3
		.amdhsa_float_denorm_mode_16_64 3
		.amdhsa_dx10_clamp 1
		.amdhsa_ieee_mode 1
		.amdhsa_fp16_overflow 0
		.amdhsa_exception_fp_ieee_invalid_op 0
		.amdhsa_exception_fp_denorm_src 0
		.amdhsa_exception_fp_ieee_div_zero 0
		.amdhsa_exception_fp_ieee_overflow 0
		.amdhsa_exception_fp_ieee_underflow 0
		.amdhsa_exception_fp_ieee_inexact 0
		.amdhsa_exception_int_div_zero 0
	.end_amdhsa_kernel
	.section	.text._ZN9rocsparseL22gebsrmvn_mxn_16_kernelILj54ELj9ELj3E21rocsparse_complex_numIdEEEvi20rocsparse_direction_NS_24const_host_device_scalarIT2_EEPKiS8_PKS5_iiSA_S6_PS5_21rocsparse_index_base_b,"axG",@progbits,_ZN9rocsparseL22gebsrmvn_mxn_16_kernelILj54ELj9ELj3E21rocsparse_complex_numIdEEEvi20rocsparse_direction_NS_24const_host_device_scalarIT2_EEPKiS8_PKS5_iiSA_S6_PS5_21rocsparse_index_base_b,comdat
.Lfunc_end104:
	.size	_ZN9rocsparseL22gebsrmvn_mxn_16_kernelILj54ELj9ELj3E21rocsparse_complex_numIdEEEvi20rocsparse_direction_NS_24const_host_device_scalarIT2_EEPKiS8_PKS5_iiSA_S6_PS5_21rocsparse_index_base_b, .Lfunc_end104-_ZN9rocsparseL22gebsrmvn_mxn_16_kernelILj54ELj9ELj3E21rocsparse_complex_numIdEEEvi20rocsparse_direction_NS_24const_host_device_scalarIT2_EEPKiS8_PKS5_iiSA_S6_PS5_21rocsparse_index_base_b
                                        ; -- End function
	.set _ZN9rocsparseL22gebsrmvn_mxn_16_kernelILj54ELj9ELj3E21rocsparse_complex_numIdEEEvi20rocsparse_direction_NS_24const_host_device_scalarIT2_EEPKiS8_PKS5_iiSA_S6_PS5_21rocsparse_index_base_b.num_vgpr, 28
	.set _ZN9rocsparseL22gebsrmvn_mxn_16_kernelILj54ELj9ELj3E21rocsparse_complex_numIdEEEvi20rocsparse_direction_NS_24const_host_device_scalarIT2_EEPKiS8_PKS5_iiSA_S6_PS5_21rocsparse_index_base_b.num_agpr, 0
	.set _ZN9rocsparseL22gebsrmvn_mxn_16_kernelILj54ELj9ELj3E21rocsparse_complex_numIdEEEvi20rocsparse_direction_NS_24const_host_device_scalarIT2_EEPKiS8_PKS5_iiSA_S6_PS5_21rocsparse_index_base_b.numbered_sgpr, 18
	.set _ZN9rocsparseL22gebsrmvn_mxn_16_kernelILj54ELj9ELj3E21rocsparse_complex_numIdEEEvi20rocsparse_direction_NS_24const_host_device_scalarIT2_EEPKiS8_PKS5_iiSA_S6_PS5_21rocsparse_index_base_b.num_named_barrier, 0
	.set _ZN9rocsparseL22gebsrmvn_mxn_16_kernelILj54ELj9ELj3E21rocsparse_complex_numIdEEEvi20rocsparse_direction_NS_24const_host_device_scalarIT2_EEPKiS8_PKS5_iiSA_S6_PS5_21rocsparse_index_base_b.private_seg_size, 0
	.set _ZN9rocsparseL22gebsrmvn_mxn_16_kernelILj54ELj9ELj3E21rocsparse_complex_numIdEEEvi20rocsparse_direction_NS_24const_host_device_scalarIT2_EEPKiS8_PKS5_iiSA_S6_PS5_21rocsparse_index_base_b.uses_vcc, 1
	.set _ZN9rocsparseL22gebsrmvn_mxn_16_kernelILj54ELj9ELj3E21rocsparse_complex_numIdEEEvi20rocsparse_direction_NS_24const_host_device_scalarIT2_EEPKiS8_PKS5_iiSA_S6_PS5_21rocsparse_index_base_b.uses_flat_scratch, 0
	.set _ZN9rocsparseL22gebsrmvn_mxn_16_kernelILj54ELj9ELj3E21rocsparse_complex_numIdEEEvi20rocsparse_direction_NS_24const_host_device_scalarIT2_EEPKiS8_PKS5_iiSA_S6_PS5_21rocsparse_index_base_b.has_dyn_sized_stack, 0
	.set _ZN9rocsparseL22gebsrmvn_mxn_16_kernelILj54ELj9ELj3E21rocsparse_complex_numIdEEEvi20rocsparse_direction_NS_24const_host_device_scalarIT2_EEPKiS8_PKS5_iiSA_S6_PS5_21rocsparse_index_base_b.has_recursion, 0
	.set _ZN9rocsparseL22gebsrmvn_mxn_16_kernelILj54ELj9ELj3E21rocsparse_complex_numIdEEEvi20rocsparse_direction_NS_24const_host_device_scalarIT2_EEPKiS8_PKS5_iiSA_S6_PS5_21rocsparse_index_base_b.has_indirect_call, 0
	.section	.AMDGPU.csdata,"",@progbits
; Kernel info:
; codeLenInByte = 1256
; TotalNumSgprs: 22
; NumVgprs: 28
; ScratchSize: 0
; MemoryBound: 0
; FloatMode: 240
; IeeeMode: 1
; LDSByteSize: 864 bytes/workgroup (compile time only)
; SGPRBlocks: 2
; VGPRBlocks: 6
; NumSGPRsForWavesPerEU: 22
; NumVGPRsForWavesPerEU: 28
; Occupancy: 9
; WaveLimiterHint : 1
; COMPUTE_PGM_RSRC2:SCRATCH_EN: 0
; COMPUTE_PGM_RSRC2:USER_SGPR: 6
; COMPUTE_PGM_RSRC2:TRAP_HANDLER: 0
; COMPUTE_PGM_RSRC2:TGID_X_EN: 1
; COMPUTE_PGM_RSRC2:TGID_Y_EN: 0
; COMPUTE_PGM_RSRC2:TGID_Z_EN: 0
; COMPUTE_PGM_RSRC2:TIDIG_COMP_CNT: 0
	.section	.text._ZN9rocsparseL22gebsrmvn_mxn_16_kernelILj36ELj9ELj4E21rocsparse_complex_numIdEEEvi20rocsparse_direction_NS_24const_host_device_scalarIT2_EEPKiS8_PKS5_iiSA_S6_PS5_21rocsparse_index_base_b,"axG",@progbits,_ZN9rocsparseL22gebsrmvn_mxn_16_kernelILj36ELj9ELj4E21rocsparse_complex_numIdEEEvi20rocsparse_direction_NS_24const_host_device_scalarIT2_EEPKiS8_PKS5_iiSA_S6_PS5_21rocsparse_index_base_b,comdat
	.globl	_ZN9rocsparseL22gebsrmvn_mxn_16_kernelILj36ELj9ELj4E21rocsparse_complex_numIdEEEvi20rocsparse_direction_NS_24const_host_device_scalarIT2_EEPKiS8_PKS5_iiSA_S6_PS5_21rocsparse_index_base_b ; -- Begin function _ZN9rocsparseL22gebsrmvn_mxn_16_kernelILj36ELj9ELj4E21rocsparse_complex_numIdEEEvi20rocsparse_direction_NS_24const_host_device_scalarIT2_EEPKiS8_PKS5_iiSA_S6_PS5_21rocsparse_index_base_b
	.p2align	8
	.type	_ZN9rocsparseL22gebsrmvn_mxn_16_kernelILj36ELj9ELj4E21rocsparse_complex_numIdEEEvi20rocsparse_direction_NS_24const_host_device_scalarIT2_EEPKiS8_PKS5_iiSA_S6_PS5_21rocsparse_index_base_b,@function
_ZN9rocsparseL22gebsrmvn_mxn_16_kernelILj36ELj9ELj4E21rocsparse_complex_numIdEEEvi20rocsparse_direction_NS_24const_host_device_scalarIT2_EEPKiS8_PKS5_iiSA_S6_PS5_21rocsparse_index_base_b: ; @_ZN9rocsparseL22gebsrmvn_mxn_16_kernelILj36ELj9ELj4E21rocsparse_complex_numIdEEEvi20rocsparse_direction_NS_24const_host_device_scalarIT2_EEPKiS8_PKS5_iiSA_S6_PS5_21rocsparse_index_base_b
; %bb.0:
	s_load_dwordx2 s[0:1], s[4:5], 0x8
	s_load_dwordx2 s[2:3], s[4:5], 0x40
	;; [unrolled: 1-line block ×3, first 2 shown]
	s_add_u32 s7, s4, 8
	s_addc_u32 s8, s5, 0
	s_add_u32 s9, s4, 64
	s_addc_u32 s12, s5, 0
	s_waitcnt lgkmcnt(0)
	s_bitcmp1_b32 s11, 0
	s_cselect_b32 s1, s8, s1
	s_cselect_b32 s0, s7, s0
	v_mov_b32_e32 v1, s0
	v_mov_b32_e32 v2, s1
	flat_load_dwordx4 v[5:8], v[1:2]
	s_cselect_b32 s0, s12, s3
	s_cselect_b32 s1, s9, s2
	v_mov_b32_e32 v1, s1
	v_mov_b32_e32 v2, s0
	flat_load_dwordx4 v[1:4], v[1:2]
	s_waitcnt vmcnt(0) lgkmcnt(0)
	v_cmp_eq_f64_e32 vcc, 0, v[5:6]
	v_cmp_eq_f64_e64 s[0:1], 0, v[7:8]
	s_and_b64 s[8:9], vcc, s[0:1]
	s_mov_b64 s[0:1], -1
	s_and_saveexec_b64 s[2:3], s[8:9]
	s_cbranch_execz .LBB105_2
; %bb.1:
	v_cmp_neq_f64_e32 vcc, 1.0, v[1:2]
	v_cmp_neq_f64_e64 s[0:1], 0, v[3:4]
	s_or_b64 s[0:1], vcc, s[0:1]
	s_orn2_b64 s[0:1], s[0:1], exec
.LBB105_2:
	s_or_b64 exec, exec, s[2:3]
	s_and_saveexec_b64 s[2:3], s[0:1]
	s_cbranch_execz .LBB105_31
; %bb.3:
	s_load_dword s2, s[4:5], 0x4
	s_load_dwordx2 s[0:1], s[4:5], 0x18
	v_and_b32_e32 v17, 3, v0
	v_mov_b32_e32 v18, v17
	s_waitcnt lgkmcnt(0)
	s_cmp_lg_u32 s2, 1
	s_cselect_b64 s[12:13], -1, 0
	s_and_b64 vcc, exec, s[12:13]
	s_cbranch_vccnz .LBB105_5
; %bb.4:
	v_mul_u32_u24_e32 v9, 0x1c72, v0
	v_bfe_u32 v18, v9, 16, 2
.LBB105_5:
	s_ashr_i32 s7, s6, 31
	s_lshl_b64 s[2:3], s[6:7], 2
	s_add_u32 s0, s0, s2
	s_addc_u32 s1, s1, s3
	s_load_dwordx2 s[16:17], s[0:1], 0x0
	s_load_dwordx2 s[8:9], s[4:5], 0x50
	v_mov_b32_e32 v11, 0
	v_mov_b32_e32 v9, 0
	;; [unrolled: 1-line block ×3, first 2 shown]
	s_waitcnt lgkmcnt(0)
	s_cmp_ge_i32 s16, s17
	v_mov_b32_e32 v10, 0
	s_cbranch_scc1 .LBB105_10
; %bb.6:
	s_load_dwordx4 s[0:3], s[4:5], 0x20
	s_load_dwordx2 s[14:15], s[4:5], 0x38
	v_mad_u64_u32 v[9:10], s[4:5], s16, 36, v[0:1]
	s_mul_i32 s4, s10, 36
	v_mov_b32_e32 v11, 0
	v_subrev_u32_e32 v13, s4, v9
	v_mov_b32_e32 v12, 0
	v_mov_b32_e32 v9, v11
	s_sub_i32 s7, s17, s10
	s_sub_i32 s11, s16, s10
	v_mul_u32_u24_e32 v19, 0x71d, v0
	v_mov_b32_e32 v14, 0
	v_mov_b32_e32 v10, v12
	s_branch .LBB105_8
.LBB105_7:                              ;   in Loop: Header=BB105_8 Depth=1
	s_or_b64 exec, exec, s[4:5]
	s_add_i32 s11, s11, 1
	s_cmp_ge_i32 s11, s7
	v_add_u32_e32 v13, 36, v13
	s_cbranch_scc1 .LBB105_10
.LBB105_8:                              ; =>This Inner Loop Header: Depth=1
	v_add_u32_sdwa v15, v19, s11 dst_sel:DWORD dst_unused:UNUSED_PAD src0_sel:WORD_1 src1_sel:DWORD
	v_cmp_gt_i32_e32 vcc, s7, v15
	s_and_saveexec_b64 s[4:5], vcc
	s_cbranch_execz .LBB105_7
; %bb.9:                                ;   in Loop: Header=BB105_8 Depth=1
	v_ashrrev_i32_e32 v16, 31, v15
	v_lshlrev_b64 v[15:16], 2, v[15:16]
	s_waitcnt lgkmcnt(0)
	v_mov_b32_e32 v20, s1
	v_add_co_u32_e32 v15, vcc, s0, v15
	v_addc_co_u32_e32 v16, vcc, v20, v16, vcc
	global_load_dword v24, v[15:16], off
	v_lshlrev_b64 v[15:16], 4, v[13:14]
	v_mov_b32_e32 v20, s3
	v_add_co_u32_e32 v15, vcc, s2, v15
	v_addc_co_u32_e32 v16, vcc, v20, v16, vcc
	global_load_dwordx4 v[20:23], v[15:16], off
	v_mov_b32_e32 v25, s15
	s_waitcnt vmcnt(1)
	v_subrev_u32_e32 v15, s10, v24
	v_lshl_or_b32 v15, v15, 2, v18
	v_ashrrev_i32_e32 v16, 31, v15
	v_lshlrev_b64 v[15:16], 4, v[15:16]
	v_add_co_u32_e32 v15, vcc, s14, v15
	v_addc_co_u32_e32 v16, vcc, v25, v16, vcc
	global_load_dwordx4 v[24:27], v[15:16], off
	s_waitcnt vmcnt(0)
	v_fma_f64 v[9:10], v[20:21], v[24:25], v[9:10]
	v_fma_f64 v[11:12], v[22:23], v[24:25], v[11:12]
	v_fma_f64 v[9:10], -v[22:23], v[26:27], v[9:10]
	v_fma_f64 v[11:12], v[20:21], v[26:27], v[11:12]
	s_branch .LBB105_7
.LBB105_10:
	v_lshlrev_b32_e32 v18, 4, v0
	s_and_b64 vcc, exec, s[12:13]
	ds_write_b128 v18, v[9:12]
	s_waitcnt lgkmcnt(0)
	; wave barrier
	s_cbranch_vccz .LBB105_18
; %bb.11:
	v_cmp_gt_u32_e32 vcc, 2, v17
	s_and_saveexec_b64 s[0:1], vcc
	s_cbranch_execz .LBB105_13
; %bb.12:
	ds_read_b128 v[13:16], v18
	ds_read_b128 v[19:22], v18 offset:32
	s_waitcnt lgkmcnt(0)
	v_add_f64 v[13:14], v[19:20], v[13:14]
	v_add_f64 v[15:16], v[21:22], v[15:16]
	ds_write_b128 v18, v[13:16]
.LBB105_13:
	s_or_b64 exec, exec, s[0:1]
	v_cmp_eq_u32_e32 vcc, 0, v17
	s_waitcnt lgkmcnt(0)
	; wave barrier
	s_and_saveexec_b64 s[0:1], vcc
	s_cbranch_execz .LBB105_15
; %bb.14:
	ds_read_b128 v[13:16], v18
	ds_read_b128 v[19:22], v18 offset:16
	s_waitcnt lgkmcnt(0)
	v_add_f64 v[13:14], v[19:20], v[13:14]
	v_add_f64 v[15:16], v[21:22], v[15:16]
	ds_write_b128 v18, v[13:16]
.LBB105_15:
	s_or_b64 exec, exec, s[0:1]
	v_mov_b32_e32 v16, v12
	v_mov_b32_e32 v14, v10
	v_cmp_gt_u32_e32 vcc, 9, v0
	v_mov_b32_e32 v15, v11
	v_mov_b32_e32 v13, v9
	s_waitcnt lgkmcnt(0)
	; wave barrier
	s_and_saveexec_b64 s[0:1], vcc
; %bb.16:
	v_mad_u32_u24 v13, v0, 48, v18
	ds_read_b128 v[13:16], v13
; %bb.17:
	s_or_b64 exec, exec, s[0:1]
	s_branch .LBB105_26
.LBB105_18:
                                        ; implicit-def: $vgpr15_vgpr16
	s_cbranch_execz .LBB105_26
; %bb.19:
	v_cmp_gt_u32_e32 vcc, 18, v0
	s_and_saveexec_b64 s[0:1], vcc
	s_cbranch_execz .LBB105_21
; %bb.20:
	s_waitcnt lgkmcnt(0)
	ds_read_b128 v[13:16], v18 offset:288
	ds_read_b128 v[19:22], v18
	s_waitcnt lgkmcnt(0)
	v_add_f64 v[13:14], v[13:14], v[19:20]
	v_add_f64 v[15:16], v[15:16], v[21:22]
	ds_write_b128 v18, v[13:16]
.LBB105_21:
	s_or_b64 exec, exec, s[0:1]
	v_cmp_lt_u32_e32 vcc, 8, v0
	s_waitcnt lgkmcnt(0)
	s_and_saveexec_b64 s[0:1], vcc
	s_xor_b64 s[0:1], exec, s[0:1]
; %bb.22:
                                        ; implicit-def: $vgpr18
; %bb.23:
	s_andn2_saveexec_b64 s[0:1], s[0:1]
	s_cbranch_execz .LBB105_25
; %bb.24:
	ds_read_b128 v[9:12], v18 offset:144
	ds_read_b128 v[13:16], v18
	s_waitcnt lgkmcnt(0)
	v_add_f64 v[9:10], v[9:10], v[13:14]
	v_add_f64 v[11:12], v[11:12], v[15:16]
	ds_write_b128 v18, v[9:12]
	s_waitcnt lgkmcnt(0)
	ds_read_b128 v[9:12], v18
.LBB105_25:
	s_or_b64 exec, exec, s[0:1]
	s_waitcnt lgkmcnt(0)
	v_mov_b32_e32 v16, v12
	v_mov_b32_e32 v14, v10
	;; [unrolled: 1-line block ×4, first 2 shown]
.LBB105_26:
	v_cmp_gt_u32_e32 vcc, 9, v0
	s_and_b64 exec, exec, vcc
	s_cbranch_execz .LBB105_31
; %bb.27:
	s_waitcnt lgkmcnt(0)
	v_mul_f64 v[9:10], v[15:16], -v[7:8]
	v_mul_f64 v[11:12], v[5:6], v[15:16]
	v_cmp_eq_f64_e32 vcc, 0, v[1:2]
	v_cmp_eq_f64_e64 s[0:1], 0, v[3:4]
	v_fma_f64 v[5:6], v[5:6], v[13:14], v[9:10]
	v_fma_f64 v[7:8], v[7:8], v[13:14], v[11:12]
	s_and_b64 s[0:1], vcc, s[0:1]
	s_and_saveexec_b64 s[2:3], s[0:1]
	s_xor_b64 s[0:1], exec, s[2:3]
	s_cbranch_execz .LBB105_29
; %bb.28:
	v_mad_u64_u32 v[0:1], s[2:3], s6, 9, v[0:1]
	v_mov_b32_e32 v1, 0
	v_mov_b32_e32 v2, s9
	v_lshlrev_b64 v[0:1], 4, v[0:1]
	v_add_co_u32_e32 v0, vcc, s8, v0
	v_addc_co_u32_e32 v1, vcc, v2, v1, vcc
	global_store_dwordx4 v[0:1], v[5:8], off
                                        ; implicit-def: $vgpr0
                                        ; implicit-def: $vgpr1_vgpr2
                                        ; implicit-def: $vgpr5_vgpr6
.LBB105_29:
	s_andn2_saveexec_b64 s[0:1], s[0:1]
	s_cbranch_execz .LBB105_31
; %bb.30:
	v_mad_u64_u32 v[9:10], s[0:1], s6, 9, v[0:1]
	v_mov_b32_e32 v10, 0
	v_mov_b32_e32 v0, s9
	v_lshlrev_b64 v[9:10], 4, v[9:10]
	v_add_co_u32_e32 v13, vcc, s8, v9
	v_addc_co_u32_e32 v14, vcc, v0, v10, vcc
	global_load_dwordx4 v[9:12], v[13:14], off
	s_waitcnt vmcnt(0)
	v_fma_f64 v[5:6], v[1:2], v[9:10], v[5:6]
	v_fma_f64 v[7:8], v[3:4], v[9:10], v[7:8]
	v_fma_f64 v[3:4], -v[3:4], v[11:12], v[5:6]
	v_fma_f64 v[5:6], v[1:2], v[11:12], v[7:8]
	global_store_dwordx4 v[13:14], v[3:6], off
.LBB105_31:
	s_endpgm
	.section	.rodata,"a",@progbits
	.p2align	6, 0x0
	.amdhsa_kernel _ZN9rocsparseL22gebsrmvn_mxn_16_kernelILj36ELj9ELj4E21rocsparse_complex_numIdEEEvi20rocsparse_direction_NS_24const_host_device_scalarIT2_EEPKiS8_PKS5_iiSA_S6_PS5_21rocsparse_index_base_b
		.amdhsa_group_segment_fixed_size 576
		.amdhsa_private_segment_fixed_size 0
		.amdhsa_kernarg_size 96
		.amdhsa_user_sgpr_count 6
		.amdhsa_user_sgpr_private_segment_buffer 1
		.amdhsa_user_sgpr_dispatch_ptr 0
		.amdhsa_user_sgpr_queue_ptr 0
		.amdhsa_user_sgpr_kernarg_segment_ptr 1
		.amdhsa_user_sgpr_dispatch_id 0
		.amdhsa_user_sgpr_flat_scratch_init 0
		.amdhsa_user_sgpr_private_segment_size 0
		.amdhsa_uses_dynamic_stack 0
		.amdhsa_system_sgpr_private_segment_wavefront_offset 0
		.amdhsa_system_sgpr_workgroup_id_x 1
		.amdhsa_system_sgpr_workgroup_id_y 0
		.amdhsa_system_sgpr_workgroup_id_z 0
		.amdhsa_system_sgpr_workgroup_info 0
		.amdhsa_system_vgpr_workitem_id 0
		.amdhsa_next_free_vgpr 28
		.amdhsa_next_free_sgpr 18
		.amdhsa_reserve_vcc 1
		.amdhsa_reserve_flat_scratch 0
		.amdhsa_float_round_mode_32 0
		.amdhsa_float_round_mode_16_64 0
		.amdhsa_float_denorm_mode_32 3
		.amdhsa_float_denorm_mode_16_64 3
		.amdhsa_dx10_clamp 1
		.amdhsa_ieee_mode 1
		.amdhsa_fp16_overflow 0
		.amdhsa_exception_fp_ieee_invalid_op 0
		.amdhsa_exception_fp_denorm_src 0
		.amdhsa_exception_fp_ieee_div_zero 0
		.amdhsa_exception_fp_ieee_overflow 0
		.amdhsa_exception_fp_ieee_underflow 0
		.amdhsa_exception_fp_ieee_inexact 0
		.amdhsa_exception_int_div_zero 0
	.end_amdhsa_kernel
	.section	.text._ZN9rocsparseL22gebsrmvn_mxn_16_kernelILj36ELj9ELj4E21rocsparse_complex_numIdEEEvi20rocsparse_direction_NS_24const_host_device_scalarIT2_EEPKiS8_PKS5_iiSA_S6_PS5_21rocsparse_index_base_b,"axG",@progbits,_ZN9rocsparseL22gebsrmvn_mxn_16_kernelILj36ELj9ELj4E21rocsparse_complex_numIdEEEvi20rocsparse_direction_NS_24const_host_device_scalarIT2_EEPKiS8_PKS5_iiSA_S6_PS5_21rocsparse_index_base_b,comdat
.Lfunc_end105:
	.size	_ZN9rocsparseL22gebsrmvn_mxn_16_kernelILj36ELj9ELj4E21rocsparse_complex_numIdEEEvi20rocsparse_direction_NS_24const_host_device_scalarIT2_EEPKiS8_PKS5_iiSA_S6_PS5_21rocsparse_index_base_b, .Lfunc_end105-_ZN9rocsparseL22gebsrmvn_mxn_16_kernelILj36ELj9ELj4E21rocsparse_complex_numIdEEEvi20rocsparse_direction_NS_24const_host_device_scalarIT2_EEPKiS8_PKS5_iiSA_S6_PS5_21rocsparse_index_base_b
                                        ; -- End function
	.set _ZN9rocsparseL22gebsrmvn_mxn_16_kernelILj36ELj9ELj4E21rocsparse_complex_numIdEEEvi20rocsparse_direction_NS_24const_host_device_scalarIT2_EEPKiS8_PKS5_iiSA_S6_PS5_21rocsparse_index_base_b.num_vgpr, 28
	.set _ZN9rocsparseL22gebsrmvn_mxn_16_kernelILj36ELj9ELj4E21rocsparse_complex_numIdEEEvi20rocsparse_direction_NS_24const_host_device_scalarIT2_EEPKiS8_PKS5_iiSA_S6_PS5_21rocsparse_index_base_b.num_agpr, 0
	.set _ZN9rocsparseL22gebsrmvn_mxn_16_kernelILj36ELj9ELj4E21rocsparse_complex_numIdEEEvi20rocsparse_direction_NS_24const_host_device_scalarIT2_EEPKiS8_PKS5_iiSA_S6_PS5_21rocsparse_index_base_b.numbered_sgpr, 18
	.set _ZN9rocsparseL22gebsrmvn_mxn_16_kernelILj36ELj9ELj4E21rocsparse_complex_numIdEEEvi20rocsparse_direction_NS_24const_host_device_scalarIT2_EEPKiS8_PKS5_iiSA_S6_PS5_21rocsparse_index_base_b.num_named_barrier, 0
	.set _ZN9rocsparseL22gebsrmvn_mxn_16_kernelILj36ELj9ELj4E21rocsparse_complex_numIdEEEvi20rocsparse_direction_NS_24const_host_device_scalarIT2_EEPKiS8_PKS5_iiSA_S6_PS5_21rocsparse_index_base_b.private_seg_size, 0
	.set _ZN9rocsparseL22gebsrmvn_mxn_16_kernelILj36ELj9ELj4E21rocsparse_complex_numIdEEEvi20rocsparse_direction_NS_24const_host_device_scalarIT2_EEPKiS8_PKS5_iiSA_S6_PS5_21rocsparse_index_base_b.uses_vcc, 1
	.set _ZN9rocsparseL22gebsrmvn_mxn_16_kernelILj36ELj9ELj4E21rocsparse_complex_numIdEEEvi20rocsparse_direction_NS_24const_host_device_scalarIT2_EEPKiS8_PKS5_iiSA_S6_PS5_21rocsparse_index_base_b.uses_flat_scratch, 0
	.set _ZN9rocsparseL22gebsrmvn_mxn_16_kernelILj36ELj9ELj4E21rocsparse_complex_numIdEEEvi20rocsparse_direction_NS_24const_host_device_scalarIT2_EEPKiS8_PKS5_iiSA_S6_PS5_21rocsparse_index_base_b.has_dyn_sized_stack, 0
	.set _ZN9rocsparseL22gebsrmvn_mxn_16_kernelILj36ELj9ELj4E21rocsparse_complex_numIdEEEvi20rocsparse_direction_NS_24const_host_device_scalarIT2_EEPKiS8_PKS5_iiSA_S6_PS5_21rocsparse_index_base_b.has_recursion, 0
	.set _ZN9rocsparseL22gebsrmvn_mxn_16_kernelILj36ELj9ELj4E21rocsparse_complex_numIdEEEvi20rocsparse_direction_NS_24const_host_device_scalarIT2_EEPKiS8_PKS5_iiSA_S6_PS5_21rocsparse_index_base_b.has_indirect_call, 0
	.section	.AMDGPU.csdata,"",@progbits
; Kernel info:
; codeLenInByte = 1128
; TotalNumSgprs: 22
; NumVgprs: 28
; ScratchSize: 0
; MemoryBound: 0
; FloatMode: 240
; IeeeMode: 1
; LDSByteSize: 576 bytes/workgroup (compile time only)
; SGPRBlocks: 2
; VGPRBlocks: 6
; NumSGPRsForWavesPerEU: 22
; NumVGPRsForWavesPerEU: 28
; Occupancy: 9
; WaveLimiterHint : 1
; COMPUTE_PGM_RSRC2:SCRATCH_EN: 0
; COMPUTE_PGM_RSRC2:USER_SGPR: 6
; COMPUTE_PGM_RSRC2:TRAP_HANDLER: 0
; COMPUTE_PGM_RSRC2:TGID_X_EN: 1
; COMPUTE_PGM_RSRC2:TGID_Y_EN: 0
; COMPUTE_PGM_RSRC2:TGID_Z_EN: 0
; COMPUTE_PGM_RSRC2:TIDIG_COMP_CNT: 0
	.section	.text._ZN9rocsparseL22gebsrmvn_mxn_16_kernelILj45ELj9ELj5E21rocsparse_complex_numIdEEEvi20rocsparse_direction_NS_24const_host_device_scalarIT2_EEPKiS8_PKS5_iiSA_S6_PS5_21rocsparse_index_base_b,"axG",@progbits,_ZN9rocsparseL22gebsrmvn_mxn_16_kernelILj45ELj9ELj5E21rocsparse_complex_numIdEEEvi20rocsparse_direction_NS_24const_host_device_scalarIT2_EEPKiS8_PKS5_iiSA_S6_PS5_21rocsparse_index_base_b,comdat
	.globl	_ZN9rocsparseL22gebsrmvn_mxn_16_kernelILj45ELj9ELj5E21rocsparse_complex_numIdEEEvi20rocsparse_direction_NS_24const_host_device_scalarIT2_EEPKiS8_PKS5_iiSA_S6_PS5_21rocsparse_index_base_b ; -- Begin function _ZN9rocsparseL22gebsrmvn_mxn_16_kernelILj45ELj9ELj5E21rocsparse_complex_numIdEEEvi20rocsparse_direction_NS_24const_host_device_scalarIT2_EEPKiS8_PKS5_iiSA_S6_PS5_21rocsparse_index_base_b
	.p2align	8
	.type	_ZN9rocsparseL22gebsrmvn_mxn_16_kernelILj45ELj9ELj5E21rocsparse_complex_numIdEEEvi20rocsparse_direction_NS_24const_host_device_scalarIT2_EEPKiS8_PKS5_iiSA_S6_PS5_21rocsparse_index_base_b,@function
_ZN9rocsparseL22gebsrmvn_mxn_16_kernelILj45ELj9ELj5E21rocsparse_complex_numIdEEEvi20rocsparse_direction_NS_24const_host_device_scalarIT2_EEPKiS8_PKS5_iiSA_S6_PS5_21rocsparse_index_base_b: ; @_ZN9rocsparseL22gebsrmvn_mxn_16_kernelILj45ELj9ELj5E21rocsparse_complex_numIdEEEvi20rocsparse_direction_NS_24const_host_device_scalarIT2_EEPKiS8_PKS5_iiSA_S6_PS5_21rocsparse_index_base_b
; %bb.0:
	s_load_dwordx2 s[0:1], s[4:5], 0x8
	s_load_dwordx2 s[2:3], s[4:5], 0x40
	;; [unrolled: 1-line block ×3, first 2 shown]
	s_add_u32 s7, s4, 8
	s_addc_u32 s8, s5, 0
	s_add_u32 s9, s4, 64
	s_addc_u32 s12, s5, 0
	s_waitcnt lgkmcnt(0)
	s_bitcmp1_b32 s11, 0
	s_cselect_b32 s1, s8, s1
	s_cselect_b32 s0, s7, s0
	v_mov_b32_e32 v1, s0
	v_mov_b32_e32 v2, s1
	flat_load_dwordx4 v[5:8], v[1:2]
	s_cselect_b32 s0, s12, s3
	s_cselect_b32 s1, s9, s2
	v_mov_b32_e32 v1, s1
	v_mov_b32_e32 v2, s0
	flat_load_dwordx4 v[1:4], v[1:2]
	s_waitcnt vmcnt(0) lgkmcnt(0)
	v_cmp_eq_f64_e32 vcc, 0, v[5:6]
	v_cmp_eq_f64_e64 s[0:1], 0, v[7:8]
	s_and_b64 s[8:9], vcc, s[0:1]
	s_mov_b64 s[0:1], -1
	s_and_saveexec_b64 s[2:3], s[8:9]
	s_cbranch_execz .LBB106_2
; %bb.1:
	v_cmp_neq_f64_e32 vcc, 1.0, v[1:2]
	v_cmp_neq_f64_e64 s[0:1], 0, v[3:4]
	s_or_b64 s[0:1], vcc, s[0:1]
	s_orn2_b64 s[0:1], s[0:1], exec
.LBB106_2:
	s_or_b64 exec, exec, s[2:3]
	s_and_saveexec_b64 s[2:3], s[0:1]
	s_cbranch_execz .LBB106_35
; %bb.3:
	s_load_dwordx2 s[0:1], s[4:5], 0x18
	s_load_dword s2, s[4:5], 0x4
	v_mul_u32_u24_e32 v10, 0x3334, v0
	v_mov_b32_e32 v9, 5
	v_mul_lo_u16_sdwa v10, v10, v9 dst_sel:DWORD dst_unused:UNUSED_PAD src0_sel:WORD_1 src1_sel:DWORD
	v_sub_u16_e32 v18, v0, v10
	s_waitcnt lgkmcnt(0)
	s_cmp_lg_u32 s2, 1
	s_cselect_b64 s[12:13], -1, 0
	s_and_b64 vcc, exec, s[12:13]
	v_mov_b32_e32 v13, v18
	s_cbranch_vccnz .LBB106_5
; %bb.4:
	s_movk_i32 s2, 0x1c72
	v_mul_u32_u24_sdwa v10, v0, s2 dst_sel:DWORD dst_unused:UNUSED_PAD src0_sel:WORD_0 src1_sel:DWORD
	v_mov_b32_e32 v11, 52
	v_mul_lo_u16_sdwa v11, v10, v11 dst_sel:DWORD dst_unused:UNUSED_PAD src0_sel:WORD_1 src1_sel:DWORD
	v_mul_lo_u16_sdwa v9, v11, v9 dst_sel:DWORD dst_unused:UNUSED_PAD src0_sel:BYTE_1 src1_sel:DWORD
	v_sub_u16_sdwa v9, v10, v9 dst_sel:DWORD dst_unused:UNUSED_PAD src0_sel:WORD_1 src1_sel:DWORD
	v_and_b32_e32 v13, 0xff, v9
.LBB106_5:
	s_ashr_i32 s7, s6, 31
	s_lshl_b64 s[2:3], s[6:7], 2
	s_add_u32 s0, s0, s2
	s_addc_u32 s1, s1, s3
	s_load_dwordx2 s[16:17], s[0:1], 0x0
	s_load_dwordx2 s[8:9], s[4:5], 0x50
	v_mov_b32_e32 v11, 0
	v_mov_b32_e32 v9, 0
	;; [unrolled: 1-line block ×3, first 2 shown]
	s_waitcnt lgkmcnt(0)
	s_cmp_ge_i32 s16, s17
	v_mov_b32_e32 v10, 0
	s_cbranch_scc1 .LBB106_10
; %bb.6:
	s_load_dwordx4 s[0:3], s[4:5], 0x20
	s_load_dwordx2 s[14:15], s[4:5], 0x38
	v_mad_u64_u32 v[9:10], s[4:5], s16, 45, v[0:1]
	s_movk_i32 s4, 0x5b1
	v_mul_u32_u24_sdwa v19, v0, s4 dst_sel:DWORD dst_unused:UNUSED_PAD src0_sel:WORD_0 src1_sel:DWORD
	s_mul_i32 s4, s10, 45
	v_mov_b32_e32 v11, 0
	v_subrev_u32_e32 v14, s4, v9
	v_mov_b32_e32 v12, 0
	v_mov_b32_e32 v9, v11
	s_sub_i32 s7, s17, s10
	s_sub_i32 s11, s16, s10
	v_mov_b32_e32 v15, 0
	v_mov_b32_e32 v10, v12
	s_branch .LBB106_8
.LBB106_7:                              ;   in Loop: Header=BB106_8 Depth=1
	s_or_b64 exec, exec, s[4:5]
	s_add_i32 s11, s11, 1
	s_cmp_ge_i32 s11, s7
	v_add_u32_e32 v14, 45, v14
	s_cbranch_scc1 .LBB106_10
.LBB106_8:                              ; =>This Inner Loop Header: Depth=1
	v_add_u32_sdwa v16, v19, s11 dst_sel:DWORD dst_unused:UNUSED_PAD src0_sel:WORD_1 src1_sel:DWORD
	v_cmp_gt_i32_e32 vcc, s7, v16
	s_and_saveexec_b64 s[4:5], vcc
	s_cbranch_execz .LBB106_7
; %bb.9:                                ;   in Loop: Header=BB106_8 Depth=1
	v_ashrrev_i32_e32 v17, 31, v16
	v_lshlrev_b64 v[16:17], 2, v[16:17]
	s_waitcnt lgkmcnt(0)
	v_mov_b32_e32 v20, s1
	v_add_co_u32_e32 v16, vcc, s0, v16
	v_addc_co_u32_e32 v17, vcc, v20, v17, vcc
	global_load_dword v20, v[16:17], off
	v_lshlrev_b64 v[16:17], 4, v[14:15]
	v_mov_b32_e32 v21, s3
	v_add_co_u32_e32 v16, vcc, s2, v16
	v_addc_co_u32_e32 v17, vcc, v21, v17, vcc
	v_mov_b32_e32 v26, s15
	s_waitcnt vmcnt(0)
	v_subrev_u32_e32 v20, s10, v20
	v_mad_u64_u32 v[24:25], s[16:17], v20, 5, v[13:14]
	global_load_dwordx4 v[20:23], v[16:17], off
	v_ashrrev_i32_e32 v25, 31, v24
	v_lshlrev_b64 v[16:17], 4, v[24:25]
	v_add_co_u32_e32 v16, vcc, s14, v16
	v_addc_co_u32_e32 v17, vcc, v26, v17, vcc
	global_load_dwordx4 v[24:27], v[16:17], off
	s_waitcnt vmcnt(0)
	v_fma_f64 v[9:10], v[20:21], v[24:25], v[9:10]
	v_fma_f64 v[11:12], v[22:23], v[24:25], v[11:12]
	v_fma_f64 v[9:10], -v[22:23], v[26:27], v[9:10]
	v_fma_f64 v[11:12], v[20:21], v[26:27], v[11:12]
	s_branch .LBB106_7
.LBB106_10:
	v_lshlrev_b32_e32 v17, 4, v0
	s_and_b64 vcc, exec, s[12:13]
	ds_write_b128 v17, v[9:12]
	s_waitcnt lgkmcnt(0)
	; wave barrier
	s_cbranch_vccz .LBB106_20
; %bb.11:
	v_cmp_eq_u16_e32 vcc, 0, v18
	s_and_saveexec_b64 s[0:1], vcc
	s_cbranch_execz .LBB106_13
; %bb.12:
	ds_read_b128 v[13:16], v17 offset:64
	ds_read_b128 v[19:22], v17
	s_waitcnt lgkmcnt(0)
	v_add_f64 v[13:14], v[13:14], v[19:20]
	v_add_f64 v[15:16], v[15:16], v[21:22]
	ds_write_b128 v17, v[13:16]
.LBB106_13:
	s_or_b64 exec, exec, s[0:1]
	v_cmp_gt_u16_e64 s[0:1], 2, v18
	s_waitcnt lgkmcnt(0)
	; wave barrier
	s_and_saveexec_b64 s[2:3], s[0:1]
	s_cbranch_execz .LBB106_15
; %bb.14:
	ds_read_b128 v[13:16], v17
	ds_read_b128 v[18:21], v17 offset:32
	s_waitcnt lgkmcnt(0)
	v_add_f64 v[13:14], v[18:19], v[13:14]
	v_add_f64 v[15:16], v[20:21], v[15:16]
	ds_write_b128 v17, v[13:16]
.LBB106_15:
	s_or_b64 exec, exec, s[2:3]
	s_waitcnt lgkmcnt(0)
	; wave barrier
	s_and_saveexec_b64 s[0:1], vcc
	s_cbranch_execz .LBB106_17
; %bb.16:
	ds_read_b128 v[13:16], v17
	ds_read_b128 v[18:21], v17 offset:16
	s_waitcnt lgkmcnt(0)
	v_add_f64 v[13:14], v[18:19], v[13:14]
	v_add_f64 v[15:16], v[20:21], v[15:16]
	ds_write_b128 v17, v[13:16]
.LBB106_17:
	s_or_b64 exec, exec, s[0:1]
	v_mov_b32_e32 v16, v12
	v_mov_b32_e32 v14, v10
	v_cmp_gt_u32_e32 vcc, 9, v0
	v_mov_b32_e32 v15, v11
	v_mov_b32_e32 v13, v9
	s_waitcnt lgkmcnt(0)
	; wave barrier
	s_and_saveexec_b64 s[0:1], vcc
; %bb.18:
	v_lshl_add_u32 v13, v0, 6, v17
	ds_read_b128 v[13:16], v13
; %bb.19:
	s_or_b64 exec, exec, s[0:1]
	v_cmp_gt_u32_e64 s[0:1], 9, v0
	s_branch .LBB106_30
.LBB106_20:
                                        ; implicit-def: $vgpr15_vgpr16
	v_cmp_gt_u32_e64 s[0:1], 9, v0
	s_cbranch_execz .LBB106_30
; %bb.21:
	v_cmp_lt_u32_e32 vcc, 8, v0
	s_and_saveexec_b64 s[2:3], s[0:1]
	s_cbranch_execz .LBB106_23
; %bb.22:
	s_waitcnt lgkmcnt(0)
	ds_read_b128 v[13:16], v17 offset:576
	ds_read_b128 v[18:21], v17
	s_waitcnt lgkmcnt(0)
	v_add_f64 v[13:14], v[13:14], v[18:19]
	v_add_f64 v[15:16], v[15:16], v[20:21]
	ds_write_b128 v17, v[13:16]
.LBB106_23:
	s_or_b64 exec, exec, s[2:3]
	v_cmp_gt_u32_e64 s[0:1], 18, v0
	s_waitcnt lgkmcnt(0)
	; wave barrier
	s_and_saveexec_b64 s[2:3], s[0:1]
	s_cbranch_execz .LBB106_25
; %bb.24:
	ds_read_b128 v[13:16], v17 offset:288
	ds_read_b128 v[18:21], v17
	s_waitcnt lgkmcnt(0)
	v_add_f64 v[13:14], v[13:14], v[18:19]
	v_add_f64 v[15:16], v[15:16], v[20:21]
	ds_write_b128 v17, v[13:16]
.LBB106_25:
	s_or_b64 exec, exec, s[2:3]
	s_waitcnt lgkmcnt(0)
	s_and_saveexec_b64 s[0:1], vcc
	s_xor_b64 s[0:1], exec, s[0:1]
; %bb.26:
                                        ; implicit-def: $vgpr17
; %bb.27:
	s_andn2_saveexec_b64 s[0:1], s[0:1]
	s_cbranch_execz .LBB106_29
; %bb.28:
	ds_read_b128 v[9:12], v17 offset:144
	ds_read_b128 v[13:16], v17
	s_waitcnt lgkmcnt(0)
	v_add_f64 v[9:10], v[9:10], v[13:14]
	v_add_f64 v[11:12], v[11:12], v[15:16]
	ds_write_b128 v17, v[9:12]
	s_waitcnt lgkmcnt(0)
	ds_read_b128 v[9:12], v17
.LBB106_29:
	s_or_b64 exec, exec, s[0:1]
	s_waitcnt lgkmcnt(0)
	v_mov_b32_e32 v16, v12
	v_mov_b32_e32 v14, v10
	;; [unrolled: 1-line block ×4, first 2 shown]
.LBB106_30:
	v_cmp_gt_u32_e32 vcc, 9, v0
	s_and_b64 exec, exec, vcc
	s_cbranch_execz .LBB106_35
; %bb.31:
	s_waitcnt lgkmcnt(0)
	v_mul_f64 v[9:10], v[15:16], -v[7:8]
	v_mul_f64 v[11:12], v[5:6], v[15:16]
	v_cmp_eq_f64_e32 vcc, 0, v[1:2]
	v_cmp_eq_f64_e64 s[0:1], 0, v[3:4]
	v_fma_f64 v[5:6], v[5:6], v[13:14], v[9:10]
	v_fma_f64 v[7:8], v[7:8], v[13:14], v[11:12]
	s_and_b64 s[0:1], vcc, s[0:1]
	s_and_saveexec_b64 s[2:3], s[0:1]
	s_xor_b64 s[0:1], exec, s[2:3]
	s_cbranch_execz .LBB106_33
; %bb.32:
	v_mad_u64_u32 v[0:1], s[2:3], s6, 9, v[0:1]
	v_mov_b32_e32 v1, 0
	v_mov_b32_e32 v2, s9
	v_lshlrev_b64 v[0:1], 4, v[0:1]
	v_add_co_u32_e32 v0, vcc, s8, v0
	v_addc_co_u32_e32 v1, vcc, v2, v1, vcc
	global_store_dwordx4 v[0:1], v[5:8], off
                                        ; implicit-def: $vgpr0
                                        ; implicit-def: $vgpr1_vgpr2
                                        ; implicit-def: $vgpr5_vgpr6
.LBB106_33:
	s_andn2_saveexec_b64 s[0:1], s[0:1]
	s_cbranch_execz .LBB106_35
; %bb.34:
	v_mad_u64_u32 v[9:10], s[0:1], s6, 9, v[0:1]
	v_mov_b32_e32 v10, 0
	v_mov_b32_e32 v0, s9
	v_lshlrev_b64 v[9:10], 4, v[9:10]
	v_add_co_u32_e32 v13, vcc, s8, v9
	v_addc_co_u32_e32 v14, vcc, v0, v10, vcc
	global_load_dwordx4 v[9:12], v[13:14], off
	s_waitcnt vmcnt(0)
	v_fma_f64 v[5:6], v[1:2], v[9:10], v[5:6]
	v_fma_f64 v[7:8], v[3:4], v[9:10], v[7:8]
	v_fma_f64 v[3:4], -v[3:4], v[11:12], v[5:6]
	v_fma_f64 v[5:6], v[1:2], v[11:12], v[7:8]
	global_store_dwordx4 v[13:14], v[3:6], off
.LBB106_35:
	s_endpgm
	.section	.rodata,"a",@progbits
	.p2align	6, 0x0
	.amdhsa_kernel _ZN9rocsparseL22gebsrmvn_mxn_16_kernelILj45ELj9ELj5E21rocsparse_complex_numIdEEEvi20rocsparse_direction_NS_24const_host_device_scalarIT2_EEPKiS8_PKS5_iiSA_S6_PS5_21rocsparse_index_base_b
		.amdhsa_group_segment_fixed_size 720
		.amdhsa_private_segment_fixed_size 0
		.amdhsa_kernarg_size 96
		.amdhsa_user_sgpr_count 6
		.amdhsa_user_sgpr_private_segment_buffer 1
		.amdhsa_user_sgpr_dispatch_ptr 0
		.amdhsa_user_sgpr_queue_ptr 0
		.amdhsa_user_sgpr_kernarg_segment_ptr 1
		.amdhsa_user_sgpr_dispatch_id 0
		.amdhsa_user_sgpr_flat_scratch_init 0
		.amdhsa_user_sgpr_private_segment_size 0
		.amdhsa_uses_dynamic_stack 0
		.amdhsa_system_sgpr_private_segment_wavefront_offset 0
		.amdhsa_system_sgpr_workgroup_id_x 1
		.amdhsa_system_sgpr_workgroup_id_y 0
		.amdhsa_system_sgpr_workgroup_id_z 0
		.amdhsa_system_sgpr_workgroup_info 0
		.amdhsa_system_vgpr_workitem_id 0
		.amdhsa_next_free_vgpr 28
		.amdhsa_next_free_sgpr 18
		.amdhsa_reserve_vcc 1
		.amdhsa_reserve_flat_scratch 0
		.amdhsa_float_round_mode_32 0
		.amdhsa_float_round_mode_16_64 0
		.amdhsa_float_denorm_mode_32 3
		.amdhsa_float_denorm_mode_16_64 3
		.amdhsa_dx10_clamp 1
		.amdhsa_ieee_mode 1
		.amdhsa_fp16_overflow 0
		.amdhsa_exception_fp_ieee_invalid_op 0
		.amdhsa_exception_fp_denorm_src 0
		.amdhsa_exception_fp_ieee_div_zero 0
		.amdhsa_exception_fp_ieee_overflow 0
		.amdhsa_exception_fp_ieee_underflow 0
		.amdhsa_exception_fp_ieee_inexact 0
		.amdhsa_exception_int_div_zero 0
	.end_amdhsa_kernel
	.section	.text._ZN9rocsparseL22gebsrmvn_mxn_16_kernelILj45ELj9ELj5E21rocsparse_complex_numIdEEEvi20rocsparse_direction_NS_24const_host_device_scalarIT2_EEPKiS8_PKS5_iiSA_S6_PS5_21rocsparse_index_base_b,"axG",@progbits,_ZN9rocsparseL22gebsrmvn_mxn_16_kernelILj45ELj9ELj5E21rocsparse_complex_numIdEEEvi20rocsparse_direction_NS_24const_host_device_scalarIT2_EEPKiS8_PKS5_iiSA_S6_PS5_21rocsparse_index_base_b,comdat
.Lfunc_end106:
	.size	_ZN9rocsparseL22gebsrmvn_mxn_16_kernelILj45ELj9ELj5E21rocsparse_complex_numIdEEEvi20rocsparse_direction_NS_24const_host_device_scalarIT2_EEPKiS8_PKS5_iiSA_S6_PS5_21rocsparse_index_base_b, .Lfunc_end106-_ZN9rocsparseL22gebsrmvn_mxn_16_kernelILj45ELj9ELj5E21rocsparse_complex_numIdEEEvi20rocsparse_direction_NS_24const_host_device_scalarIT2_EEPKiS8_PKS5_iiSA_S6_PS5_21rocsparse_index_base_b
                                        ; -- End function
	.set _ZN9rocsparseL22gebsrmvn_mxn_16_kernelILj45ELj9ELj5E21rocsparse_complex_numIdEEEvi20rocsparse_direction_NS_24const_host_device_scalarIT2_EEPKiS8_PKS5_iiSA_S6_PS5_21rocsparse_index_base_b.num_vgpr, 28
	.set _ZN9rocsparseL22gebsrmvn_mxn_16_kernelILj45ELj9ELj5E21rocsparse_complex_numIdEEEvi20rocsparse_direction_NS_24const_host_device_scalarIT2_EEPKiS8_PKS5_iiSA_S6_PS5_21rocsparse_index_base_b.num_agpr, 0
	.set _ZN9rocsparseL22gebsrmvn_mxn_16_kernelILj45ELj9ELj5E21rocsparse_complex_numIdEEEvi20rocsparse_direction_NS_24const_host_device_scalarIT2_EEPKiS8_PKS5_iiSA_S6_PS5_21rocsparse_index_base_b.numbered_sgpr, 18
	.set _ZN9rocsparseL22gebsrmvn_mxn_16_kernelILj45ELj9ELj5E21rocsparse_complex_numIdEEEvi20rocsparse_direction_NS_24const_host_device_scalarIT2_EEPKiS8_PKS5_iiSA_S6_PS5_21rocsparse_index_base_b.num_named_barrier, 0
	.set _ZN9rocsparseL22gebsrmvn_mxn_16_kernelILj45ELj9ELj5E21rocsparse_complex_numIdEEEvi20rocsparse_direction_NS_24const_host_device_scalarIT2_EEPKiS8_PKS5_iiSA_S6_PS5_21rocsparse_index_base_b.private_seg_size, 0
	.set _ZN9rocsparseL22gebsrmvn_mxn_16_kernelILj45ELj9ELj5E21rocsparse_complex_numIdEEEvi20rocsparse_direction_NS_24const_host_device_scalarIT2_EEPKiS8_PKS5_iiSA_S6_PS5_21rocsparse_index_base_b.uses_vcc, 1
	.set _ZN9rocsparseL22gebsrmvn_mxn_16_kernelILj45ELj9ELj5E21rocsparse_complex_numIdEEEvi20rocsparse_direction_NS_24const_host_device_scalarIT2_EEPKiS8_PKS5_iiSA_S6_PS5_21rocsparse_index_base_b.uses_flat_scratch, 0
	.set _ZN9rocsparseL22gebsrmvn_mxn_16_kernelILj45ELj9ELj5E21rocsparse_complex_numIdEEEvi20rocsparse_direction_NS_24const_host_device_scalarIT2_EEPKiS8_PKS5_iiSA_S6_PS5_21rocsparse_index_base_b.has_dyn_sized_stack, 0
	.set _ZN9rocsparseL22gebsrmvn_mxn_16_kernelILj45ELj9ELj5E21rocsparse_complex_numIdEEEvi20rocsparse_direction_NS_24const_host_device_scalarIT2_EEPKiS8_PKS5_iiSA_S6_PS5_21rocsparse_index_base_b.has_recursion, 0
	.set _ZN9rocsparseL22gebsrmvn_mxn_16_kernelILj45ELj9ELj5E21rocsparse_complex_numIdEEEvi20rocsparse_direction_NS_24const_host_device_scalarIT2_EEPKiS8_PKS5_iiSA_S6_PS5_21rocsparse_index_base_b.has_indirect_call, 0
	.section	.AMDGPU.csdata,"",@progbits
; Kernel info:
; codeLenInByte = 1328
; TotalNumSgprs: 22
; NumVgprs: 28
; ScratchSize: 0
; MemoryBound: 0
; FloatMode: 240
; IeeeMode: 1
; LDSByteSize: 720 bytes/workgroup (compile time only)
; SGPRBlocks: 2
; VGPRBlocks: 6
; NumSGPRsForWavesPerEU: 22
; NumVGPRsForWavesPerEU: 28
; Occupancy: 9
; WaveLimiterHint : 1
; COMPUTE_PGM_RSRC2:SCRATCH_EN: 0
; COMPUTE_PGM_RSRC2:USER_SGPR: 6
; COMPUTE_PGM_RSRC2:TRAP_HANDLER: 0
; COMPUTE_PGM_RSRC2:TGID_X_EN: 1
; COMPUTE_PGM_RSRC2:TGID_Y_EN: 0
; COMPUTE_PGM_RSRC2:TGID_Z_EN: 0
; COMPUTE_PGM_RSRC2:TIDIG_COMP_CNT: 0
	.section	.text._ZN9rocsparseL22gebsrmvn_mxn_16_kernelILj54ELj9ELj6E21rocsparse_complex_numIdEEEvi20rocsparse_direction_NS_24const_host_device_scalarIT2_EEPKiS8_PKS5_iiSA_S6_PS5_21rocsparse_index_base_b,"axG",@progbits,_ZN9rocsparseL22gebsrmvn_mxn_16_kernelILj54ELj9ELj6E21rocsparse_complex_numIdEEEvi20rocsparse_direction_NS_24const_host_device_scalarIT2_EEPKiS8_PKS5_iiSA_S6_PS5_21rocsparse_index_base_b,comdat
	.globl	_ZN9rocsparseL22gebsrmvn_mxn_16_kernelILj54ELj9ELj6E21rocsparse_complex_numIdEEEvi20rocsparse_direction_NS_24const_host_device_scalarIT2_EEPKiS8_PKS5_iiSA_S6_PS5_21rocsparse_index_base_b ; -- Begin function _ZN9rocsparseL22gebsrmvn_mxn_16_kernelILj54ELj9ELj6E21rocsparse_complex_numIdEEEvi20rocsparse_direction_NS_24const_host_device_scalarIT2_EEPKiS8_PKS5_iiSA_S6_PS5_21rocsparse_index_base_b
	.p2align	8
	.type	_ZN9rocsparseL22gebsrmvn_mxn_16_kernelILj54ELj9ELj6E21rocsparse_complex_numIdEEEvi20rocsparse_direction_NS_24const_host_device_scalarIT2_EEPKiS8_PKS5_iiSA_S6_PS5_21rocsparse_index_base_b,@function
_ZN9rocsparseL22gebsrmvn_mxn_16_kernelILj54ELj9ELj6E21rocsparse_complex_numIdEEEvi20rocsparse_direction_NS_24const_host_device_scalarIT2_EEPKiS8_PKS5_iiSA_S6_PS5_21rocsparse_index_base_b: ; @_ZN9rocsparseL22gebsrmvn_mxn_16_kernelILj54ELj9ELj6E21rocsparse_complex_numIdEEEvi20rocsparse_direction_NS_24const_host_device_scalarIT2_EEPKiS8_PKS5_iiSA_S6_PS5_21rocsparse_index_base_b
; %bb.0:
	s_load_dwordx2 s[0:1], s[4:5], 0x8
	s_load_dwordx2 s[2:3], s[4:5], 0x40
	;; [unrolled: 1-line block ×3, first 2 shown]
	s_add_u32 s7, s4, 8
	s_addc_u32 s8, s5, 0
	s_add_u32 s9, s4, 64
	s_addc_u32 s12, s5, 0
	s_waitcnt lgkmcnt(0)
	s_bitcmp1_b32 s11, 0
	s_cselect_b32 s1, s8, s1
	s_cselect_b32 s0, s7, s0
	v_mov_b32_e32 v1, s0
	v_mov_b32_e32 v2, s1
	flat_load_dwordx4 v[5:8], v[1:2]
	s_cselect_b32 s0, s12, s3
	s_cselect_b32 s1, s9, s2
	v_mov_b32_e32 v1, s1
	v_mov_b32_e32 v2, s0
	flat_load_dwordx4 v[1:4], v[1:2]
	s_waitcnt vmcnt(0) lgkmcnt(0)
	v_cmp_eq_f64_e32 vcc, 0, v[5:6]
	v_cmp_eq_f64_e64 s[0:1], 0, v[7:8]
	s_and_b64 s[8:9], vcc, s[0:1]
	s_mov_b64 s[0:1], -1
	s_and_saveexec_b64 s[2:3], s[8:9]
	s_cbranch_execz .LBB107_2
; %bb.1:
	v_cmp_neq_f64_e32 vcc, 1.0, v[1:2]
	v_cmp_neq_f64_e64 s[0:1], 0, v[3:4]
	s_or_b64 s[0:1], vcc, s[0:1]
	s_orn2_b64 s[0:1], s[0:1], exec
.LBB107_2:
	s_or_b64 exec, exec, s[2:3]
	s_and_saveexec_b64 s[2:3], s[0:1]
	s_cbranch_execz .LBB107_35
; %bb.3:
	s_load_dwordx2 s[0:1], s[4:5], 0x18
	s_load_dword s2, s[4:5], 0x4
	v_mul_u32_u24_e32 v10, 0x2aab, v0
	v_mov_b32_e32 v9, 6
	v_mul_lo_u16_sdwa v10, v10, v9 dst_sel:DWORD dst_unused:UNUSED_PAD src0_sel:WORD_1 src1_sel:DWORD
	v_sub_u16_e32 v18, v0, v10
	s_waitcnt lgkmcnt(0)
	s_cmp_lg_u32 s2, 1
	s_cselect_b64 s[12:13], -1, 0
	s_and_b64 vcc, exec, s[12:13]
	v_mov_b32_e32 v13, v18
	s_cbranch_vccnz .LBB107_5
; %bb.4:
	s_movk_i32 s2, 0x1c72
	v_mul_u32_u24_sdwa v10, v0, s2 dst_sel:DWORD dst_unused:UNUSED_PAD src0_sel:WORD_0 src1_sel:DWORD
	v_mov_b32_e32 v11, 43
	v_mul_lo_u16_sdwa v11, v10, v11 dst_sel:DWORD dst_unused:UNUSED_PAD src0_sel:WORD_1 src1_sel:DWORD
	v_mul_lo_u16_sdwa v9, v11, v9 dst_sel:DWORD dst_unused:UNUSED_PAD src0_sel:BYTE_1 src1_sel:DWORD
	v_sub_u16_sdwa v9, v10, v9 dst_sel:DWORD dst_unused:UNUSED_PAD src0_sel:WORD_1 src1_sel:DWORD
	v_and_b32_e32 v13, 0xff, v9
.LBB107_5:
	s_ashr_i32 s7, s6, 31
	s_lshl_b64 s[2:3], s[6:7], 2
	s_add_u32 s0, s0, s2
	s_addc_u32 s1, s1, s3
	s_load_dwordx2 s[16:17], s[0:1], 0x0
	s_load_dwordx2 s[8:9], s[4:5], 0x50
	v_mov_b32_e32 v11, 0
	v_mov_b32_e32 v9, 0
	;; [unrolled: 1-line block ×3, first 2 shown]
	s_waitcnt lgkmcnt(0)
	s_cmp_ge_i32 s16, s17
	v_mov_b32_e32 v10, 0
	s_cbranch_scc1 .LBB107_10
; %bb.6:
	s_load_dwordx4 s[0:3], s[4:5], 0x20
	s_load_dwordx2 s[14:15], s[4:5], 0x38
	v_mad_u64_u32 v[9:10], s[4:5], s16, 54, v[0:1]
	s_movk_i32 s4, 0x4be
	v_mul_u32_u24_sdwa v19, v0, s4 dst_sel:DWORD dst_unused:UNUSED_PAD src0_sel:WORD_0 src1_sel:DWORD
	s_mul_i32 s4, s10, 54
	v_mov_b32_e32 v11, 0
	v_subrev_u32_e32 v14, s4, v9
	v_mov_b32_e32 v12, 0
	v_mov_b32_e32 v9, v11
	s_sub_i32 s7, s17, s10
	s_sub_i32 s11, s16, s10
	v_mov_b32_e32 v15, 0
	v_mov_b32_e32 v10, v12
	s_branch .LBB107_8
.LBB107_7:                              ;   in Loop: Header=BB107_8 Depth=1
	s_or_b64 exec, exec, s[4:5]
	s_add_i32 s11, s11, 1
	s_cmp_ge_i32 s11, s7
	v_add_u32_e32 v14, 54, v14
	s_cbranch_scc1 .LBB107_10
.LBB107_8:                              ; =>This Inner Loop Header: Depth=1
	v_add_u32_sdwa v16, v19, s11 dst_sel:DWORD dst_unused:UNUSED_PAD src0_sel:WORD_1 src1_sel:DWORD
	v_cmp_gt_i32_e32 vcc, s7, v16
	s_and_saveexec_b64 s[4:5], vcc
	s_cbranch_execz .LBB107_7
; %bb.9:                                ;   in Loop: Header=BB107_8 Depth=1
	v_ashrrev_i32_e32 v17, 31, v16
	v_lshlrev_b64 v[16:17], 2, v[16:17]
	s_waitcnt lgkmcnt(0)
	v_mov_b32_e32 v20, s1
	v_add_co_u32_e32 v16, vcc, s0, v16
	v_addc_co_u32_e32 v17, vcc, v20, v17, vcc
	global_load_dword v20, v[16:17], off
	v_lshlrev_b64 v[16:17], 4, v[14:15]
	v_mov_b32_e32 v21, s3
	v_add_co_u32_e32 v16, vcc, s2, v16
	v_addc_co_u32_e32 v17, vcc, v21, v17, vcc
	v_mov_b32_e32 v26, s15
	s_waitcnt vmcnt(0)
	v_subrev_u32_e32 v20, s10, v20
	v_mad_u64_u32 v[24:25], s[16:17], v20, 6, v[13:14]
	global_load_dwordx4 v[20:23], v[16:17], off
	v_ashrrev_i32_e32 v25, 31, v24
	v_lshlrev_b64 v[16:17], 4, v[24:25]
	v_add_co_u32_e32 v16, vcc, s14, v16
	v_addc_co_u32_e32 v17, vcc, v26, v17, vcc
	global_load_dwordx4 v[24:27], v[16:17], off
	s_waitcnt vmcnt(0)
	v_fma_f64 v[9:10], v[20:21], v[24:25], v[9:10]
	v_fma_f64 v[11:12], v[22:23], v[24:25], v[11:12]
	v_fma_f64 v[9:10], -v[22:23], v[26:27], v[9:10]
	v_fma_f64 v[11:12], v[20:21], v[26:27], v[11:12]
	s_branch .LBB107_7
.LBB107_10:
	v_lshlrev_b32_e32 v17, 4, v0
	s_and_b64 vcc, exec, s[12:13]
	ds_write_b128 v17, v[9:12]
	s_waitcnt lgkmcnt(0)
	; wave barrier
	s_cbranch_vccz .LBB107_20
; %bb.11:
	v_cmp_gt_u16_e32 vcc, 2, v18
	s_and_saveexec_b64 s[0:1], vcc
	s_cbranch_execz .LBB107_13
; %bb.12:
	ds_read_b128 v[13:16], v17 offset:64
	ds_read_b128 v[19:22], v17
	s_waitcnt lgkmcnt(0)
	v_add_f64 v[13:14], v[13:14], v[19:20]
	v_add_f64 v[15:16], v[15:16], v[21:22]
	ds_write_b128 v17, v[13:16]
.LBB107_13:
	s_or_b64 exec, exec, s[0:1]
	s_waitcnt lgkmcnt(0)
	; wave barrier
	s_and_saveexec_b64 s[0:1], vcc
	s_cbranch_execz .LBB107_15
; %bb.14:
	ds_read_b128 v[13:16], v17
	ds_read_b128 v[19:22], v17 offset:32
	s_waitcnt lgkmcnt(0)
	v_add_f64 v[13:14], v[19:20], v[13:14]
	v_add_f64 v[15:16], v[21:22], v[15:16]
	ds_write_b128 v17, v[13:16]
.LBB107_15:
	s_or_b64 exec, exec, s[0:1]
	v_cmp_eq_u16_e32 vcc, 0, v18
	s_waitcnt lgkmcnt(0)
	; wave barrier
	s_and_saveexec_b64 s[0:1], vcc
	s_cbranch_execz .LBB107_17
; %bb.16:
	ds_read_b128 v[13:16], v17
	ds_read_b128 v[18:21], v17 offset:16
	s_waitcnt lgkmcnt(0)
	v_add_f64 v[13:14], v[18:19], v[13:14]
	v_add_f64 v[15:16], v[20:21], v[15:16]
	ds_write_b128 v17, v[13:16]
.LBB107_17:
	s_or_b64 exec, exec, s[0:1]
	v_mov_b32_e32 v16, v12
	v_mov_b32_e32 v14, v10
	v_cmp_gt_u32_e32 vcc, 9, v0
	v_mov_b32_e32 v15, v11
	v_mov_b32_e32 v13, v9
	s_waitcnt lgkmcnt(0)
	; wave barrier
	s_and_saveexec_b64 s[0:1], vcc
; %bb.18:
	s_movk_i32 s2, 0x50
	v_mad_u32_u24 v13, v0, s2, v17
	ds_read_b128 v[13:16], v13
; %bb.19:
	s_or_b64 exec, exec, s[0:1]
	s_branch .LBB107_30
.LBB107_20:
                                        ; implicit-def: $vgpr15_vgpr16
	s_cbranch_execz .LBB107_30
; %bb.21:
	v_cmp_gt_u32_e32 vcc, 18, v0
	s_and_saveexec_b64 s[0:1], vcc
	s_cbranch_execz .LBB107_23
; %bb.22:
	s_waitcnt lgkmcnt(0)
	ds_read_b128 v[13:16], v17 offset:576
	ds_read_b128 v[18:21], v17
	s_waitcnt lgkmcnt(0)
	v_add_f64 v[13:14], v[13:14], v[18:19]
	v_add_f64 v[15:16], v[15:16], v[20:21]
	ds_write_b128 v17, v[13:16]
.LBB107_23:
	s_or_b64 exec, exec, s[0:1]
	s_waitcnt lgkmcnt(0)
	; wave barrier
	s_and_saveexec_b64 s[0:1], vcc
	s_cbranch_execz .LBB107_25
; %bb.24:
	ds_read_b128 v[13:16], v17 offset:288
	ds_read_b128 v[18:21], v17
	s_waitcnt lgkmcnt(0)
	v_add_f64 v[13:14], v[13:14], v[18:19]
	v_add_f64 v[15:16], v[15:16], v[20:21]
	ds_write_b128 v17, v[13:16]
.LBB107_25:
	s_or_b64 exec, exec, s[0:1]
	v_cmp_lt_u32_e32 vcc, 8, v0
	s_waitcnt lgkmcnt(0)
	s_and_saveexec_b64 s[0:1], vcc
	s_xor_b64 s[0:1], exec, s[0:1]
; %bb.26:
                                        ; implicit-def: $vgpr17
; %bb.27:
	s_andn2_saveexec_b64 s[0:1], s[0:1]
	s_cbranch_execz .LBB107_29
; %bb.28:
	ds_read_b128 v[9:12], v17 offset:144
	ds_read_b128 v[13:16], v17
	s_waitcnt lgkmcnt(0)
	v_add_f64 v[9:10], v[9:10], v[13:14]
	v_add_f64 v[11:12], v[11:12], v[15:16]
	ds_write_b128 v17, v[9:12]
	s_waitcnt lgkmcnt(0)
	ds_read_b128 v[9:12], v17
.LBB107_29:
	s_or_b64 exec, exec, s[0:1]
	s_waitcnt lgkmcnt(0)
	v_mov_b32_e32 v16, v12
	v_mov_b32_e32 v14, v10
	;; [unrolled: 1-line block ×4, first 2 shown]
.LBB107_30:
	v_cmp_gt_u32_e32 vcc, 9, v0
	s_and_b64 exec, exec, vcc
	s_cbranch_execz .LBB107_35
; %bb.31:
	s_waitcnt lgkmcnt(0)
	v_mul_f64 v[9:10], v[15:16], -v[7:8]
	v_mul_f64 v[11:12], v[5:6], v[15:16]
	v_cmp_eq_f64_e32 vcc, 0, v[1:2]
	v_cmp_eq_f64_e64 s[0:1], 0, v[3:4]
	v_fma_f64 v[5:6], v[5:6], v[13:14], v[9:10]
	v_fma_f64 v[7:8], v[7:8], v[13:14], v[11:12]
	s_and_b64 s[0:1], vcc, s[0:1]
	s_and_saveexec_b64 s[2:3], s[0:1]
	s_xor_b64 s[0:1], exec, s[2:3]
	s_cbranch_execz .LBB107_33
; %bb.32:
	v_mad_u64_u32 v[0:1], s[2:3], s6, 9, v[0:1]
	v_mov_b32_e32 v1, 0
	v_mov_b32_e32 v2, s9
	v_lshlrev_b64 v[0:1], 4, v[0:1]
	v_add_co_u32_e32 v0, vcc, s8, v0
	v_addc_co_u32_e32 v1, vcc, v2, v1, vcc
	global_store_dwordx4 v[0:1], v[5:8], off
                                        ; implicit-def: $vgpr0
                                        ; implicit-def: $vgpr1_vgpr2
                                        ; implicit-def: $vgpr5_vgpr6
.LBB107_33:
	s_andn2_saveexec_b64 s[0:1], s[0:1]
	s_cbranch_execz .LBB107_35
; %bb.34:
	v_mad_u64_u32 v[9:10], s[0:1], s6, 9, v[0:1]
	v_mov_b32_e32 v10, 0
	v_mov_b32_e32 v0, s9
	v_lshlrev_b64 v[9:10], 4, v[9:10]
	v_add_co_u32_e32 v13, vcc, s8, v9
	v_addc_co_u32_e32 v14, vcc, v0, v10, vcc
	global_load_dwordx4 v[9:12], v[13:14], off
	s_waitcnt vmcnt(0)
	v_fma_f64 v[5:6], v[1:2], v[9:10], v[5:6]
	v_fma_f64 v[7:8], v[3:4], v[9:10], v[7:8]
	v_fma_f64 v[3:4], -v[3:4], v[11:12], v[5:6]
	v_fma_f64 v[5:6], v[1:2], v[11:12], v[7:8]
	global_store_dwordx4 v[13:14], v[3:6], off
.LBB107_35:
	s_endpgm
	.section	.rodata,"a",@progbits
	.p2align	6, 0x0
	.amdhsa_kernel _ZN9rocsparseL22gebsrmvn_mxn_16_kernelILj54ELj9ELj6E21rocsparse_complex_numIdEEEvi20rocsparse_direction_NS_24const_host_device_scalarIT2_EEPKiS8_PKS5_iiSA_S6_PS5_21rocsparse_index_base_b
		.amdhsa_group_segment_fixed_size 864
		.amdhsa_private_segment_fixed_size 0
		.amdhsa_kernarg_size 96
		.amdhsa_user_sgpr_count 6
		.amdhsa_user_sgpr_private_segment_buffer 1
		.amdhsa_user_sgpr_dispatch_ptr 0
		.amdhsa_user_sgpr_queue_ptr 0
		.amdhsa_user_sgpr_kernarg_segment_ptr 1
		.amdhsa_user_sgpr_dispatch_id 0
		.amdhsa_user_sgpr_flat_scratch_init 0
		.amdhsa_user_sgpr_private_segment_size 0
		.amdhsa_uses_dynamic_stack 0
		.amdhsa_system_sgpr_private_segment_wavefront_offset 0
		.amdhsa_system_sgpr_workgroup_id_x 1
		.amdhsa_system_sgpr_workgroup_id_y 0
		.amdhsa_system_sgpr_workgroup_id_z 0
		.amdhsa_system_sgpr_workgroup_info 0
		.amdhsa_system_vgpr_workitem_id 0
		.amdhsa_next_free_vgpr 28
		.amdhsa_next_free_sgpr 18
		.amdhsa_reserve_vcc 1
		.amdhsa_reserve_flat_scratch 0
		.amdhsa_float_round_mode_32 0
		.amdhsa_float_round_mode_16_64 0
		.amdhsa_float_denorm_mode_32 3
		.amdhsa_float_denorm_mode_16_64 3
		.amdhsa_dx10_clamp 1
		.amdhsa_ieee_mode 1
		.amdhsa_fp16_overflow 0
		.amdhsa_exception_fp_ieee_invalid_op 0
		.amdhsa_exception_fp_denorm_src 0
		.amdhsa_exception_fp_ieee_div_zero 0
		.amdhsa_exception_fp_ieee_overflow 0
		.amdhsa_exception_fp_ieee_underflow 0
		.amdhsa_exception_fp_ieee_inexact 0
		.amdhsa_exception_int_div_zero 0
	.end_amdhsa_kernel
	.section	.text._ZN9rocsparseL22gebsrmvn_mxn_16_kernelILj54ELj9ELj6E21rocsparse_complex_numIdEEEvi20rocsparse_direction_NS_24const_host_device_scalarIT2_EEPKiS8_PKS5_iiSA_S6_PS5_21rocsparse_index_base_b,"axG",@progbits,_ZN9rocsparseL22gebsrmvn_mxn_16_kernelILj54ELj9ELj6E21rocsparse_complex_numIdEEEvi20rocsparse_direction_NS_24const_host_device_scalarIT2_EEPKiS8_PKS5_iiSA_S6_PS5_21rocsparse_index_base_b,comdat
.Lfunc_end107:
	.size	_ZN9rocsparseL22gebsrmvn_mxn_16_kernelILj54ELj9ELj6E21rocsparse_complex_numIdEEEvi20rocsparse_direction_NS_24const_host_device_scalarIT2_EEPKiS8_PKS5_iiSA_S6_PS5_21rocsparse_index_base_b, .Lfunc_end107-_ZN9rocsparseL22gebsrmvn_mxn_16_kernelILj54ELj9ELj6E21rocsparse_complex_numIdEEEvi20rocsparse_direction_NS_24const_host_device_scalarIT2_EEPKiS8_PKS5_iiSA_S6_PS5_21rocsparse_index_base_b
                                        ; -- End function
	.set _ZN9rocsparseL22gebsrmvn_mxn_16_kernelILj54ELj9ELj6E21rocsparse_complex_numIdEEEvi20rocsparse_direction_NS_24const_host_device_scalarIT2_EEPKiS8_PKS5_iiSA_S6_PS5_21rocsparse_index_base_b.num_vgpr, 28
	.set _ZN9rocsparseL22gebsrmvn_mxn_16_kernelILj54ELj9ELj6E21rocsparse_complex_numIdEEEvi20rocsparse_direction_NS_24const_host_device_scalarIT2_EEPKiS8_PKS5_iiSA_S6_PS5_21rocsparse_index_base_b.num_agpr, 0
	.set _ZN9rocsparseL22gebsrmvn_mxn_16_kernelILj54ELj9ELj6E21rocsparse_complex_numIdEEEvi20rocsparse_direction_NS_24const_host_device_scalarIT2_EEPKiS8_PKS5_iiSA_S6_PS5_21rocsparse_index_base_b.numbered_sgpr, 18
	.set _ZN9rocsparseL22gebsrmvn_mxn_16_kernelILj54ELj9ELj6E21rocsparse_complex_numIdEEEvi20rocsparse_direction_NS_24const_host_device_scalarIT2_EEPKiS8_PKS5_iiSA_S6_PS5_21rocsparse_index_base_b.num_named_barrier, 0
	.set _ZN9rocsparseL22gebsrmvn_mxn_16_kernelILj54ELj9ELj6E21rocsparse_complex_numIdEEEvi20rocsparse_direction_NS_24const_host_device_scalarIT2_EEPKiS8_PKS5_iiSA_S6_PS5_21rocsparse_index_base_b.private_seg_size, 0
	.set _ZN9rocsparseL22gebsrmvn_mxn_16_kernelILj54ELj9ELj6E21rocsparse_complex_numIdEEEvi20rocsparse_direction_NS_24const_host_device_scalarIT2_EEPKiS8_PKS5_iiSA_S6_PS5_21rocsparse_index_base_b.uses_vcc, 1
	.set _ZN9rocsparseL22gebsrmvn_mxn_16_kernelILj54ELj9ELj6E21rocsparse_complex_numIdEEEvi20rocsparse_direction_NS_24const_host_device_scalarIT2_EEPKiS8_PKS5_iiSA_S6_PS5_21rocsparse_index_base_b.uses_flat_scratch, 0
	.set _ZN9rocsparseL22gebsrmvn_mxn_16_kernelILj54ELj9ELj6E21rocsparse_complex_numIdEEEvi20rocsparse_direction_NS_24const_host_device_scalarIT2_EEPKiS8_PKS5_iiSA_S6_PS5_21rocsparse_index_base_b.has_dyn_sized_stack, 0
	.set _ZN9rocsparseL22gebsrmvn_mxn_16_kernelILj54ELj9ELj6E21rocsparse_complex_numIdEEEvi20rocsparse_direction_NS_24const_host_device_scalarIT2_EEPKiS8_PKS5_iiSA_S6_PS5_21rocsparse_index_base_b.has_recursion, 0
	.set _ZN9rocsparseL22gebsrmvn_mxn_16_kernelILj54ELj9ELj6E21rocsparse_complex_numIdEEEvi20rocsparse_direction_NS_24const_host_device_scalarIT2_EEPKiS8_PKS5_iiSA_S6_PS5_21rocsparse_index_base_b.has_indirect_call, 0
	.section	.AMDGPU.csdata,"",@progbits
; Kernel info:
; codeLenInByte = 1308
; TotalNumSgprs: 22
; NumVgprs: 28
; ScratchSize: 0
; MemoryBound: 0
; FloatMode: 240
; IeeeMode: 1
; LDSByteSize: 864 bytes/workgroup (compile time only)
; SGPRBlocks: 2
; VGPRBlocks: 6
; NumSGPRsForWavesPerEU: 22
; NumVGPRsForWavesPerEU: 28
; Occupancy: 9
; WaveLimiterHint : 1
; COMPUTE_PGM_RSRC2:SCRATCH_EN: 0
; COMPUTE_PGM_RSRC2:USER_SGPR: 6
; COMPUTE_PGM_RSRC2:TRAP_HANDLER: 0
; COMPUTE_PGM_RSRC2:TGID_X_EN: 1
; COMPUTE_PGM_RSRC2:TGID_Y_EN: 0
; COMPUTE_PGM_RSRC2:TGID_Z_EN: 0
; COMPUTE_PGM_RSRC2:TIDIG_COMP_CNT: 0
	.section	.text._ZN9rocsparseL22gebsrmvn_mxn_16_kernelILj63ELj9ELj7E21rocsparse_complex_numIdEEEvi20rocsparse_direction_NS_24const_host_device_scalarIT2_EEPKiS8_PKS5_iiSA_S6_PS5_21rocsparse_index_base_b,"axG",@progbits,_ZN9rocsparseL22gebsrmvn_mxn_16_kernelILj63ELj9ELj7E21rocsparse_complex_numIdEEEvi20rocsparse_direction_NS_24const_host_device_scalarIT2_EEPKiS8_PKS5_iiSA_S6_PS5_21rocsparse_index_base_b,comdat
	.globl	_ZN9rocsparseL22gebsrmvn_mxn_16_kernelILj63ELj9ELj7E21rocsparse_complex_numIdEEEvi20rocsparse_direction_NS_24const_host_device_scalarIT2_EEPKiS8_PKS5_iiSA_S6_PS5_21rocsparse_index_base_b ; -- Begin function _ZN9rocsparseL22gebsrmvn_mxn_16_kernelILj63ELj9ELj7E21rocsparse_complex_numIdEEEvi20rocsparse_direction_NS_24const_host_device_scalarIT2_EEPKiS8_PKS5_iiSA_S6_PS5_21rocsparse_index_base_b
	.p2align	8
	.type	_ZN9rocsparseL22gebsrmvn_mxn_16_kernelILj63ELj9ELj7E21rocsparse_complex_numIdEEEvi20rocsparse_direction_NS_24const_host_device_scalarIT2_EEPKiS8_PKS5_iiSA_S6_PS5_21rocsparse_index_base_b,@function
_ZN9rocsparseL22gebsrmvn_mxn_16_kernelILj63ELj9ELj7E21rocsparse_complex_numIdEEEvi20rocsparse_direction_NS_24const_host_device_scalarIT2_EEPKiS8_PKS5_iiSA_S6_PS5_21rocsparse_index_base_b: ; @_ZN9rocsparseL22gebsrmvn_mxn_16_kernelILj63ELj9ELj7E21rocsparse_complex_numIdEEEvi20rocsparse_direction_NS_24const_host_device_scalarIT2_EEPKiS8_PKS5_iiSA_S6_PS5_21rocsparse_index_base_b
; %bb.0:
	s_load_dwordx2 s[0:1], s[4:5], 0x8
	s_load_dwordx2 s[2:3], s[4:5], 0x40
	;; [unrolled: 1-line block ×3, first 2 shown]
	s_add_u32 s7, s4, 8
	s_addc_u32 s8, s5, 0
	s_add_u32 s9, s4, 64
	s_addc_u32 s12, s5, 0
	s_waitcnt lgkmcnt(0)
	s_bitcmp1_b32 s11, 0
	s_cselect_b32 s1, s8, s1
	s_cselect_b32 s0, s7, s0
	v_mov_b32_e32 v1, s0
	v_mov_b32_e32 v2, s1
	flat_load_dwordx4 v[5:8], v[1:2]
	s_cselect_b32 s0, s12, s3
	s_cselect_b32 s1, s9, s2
	v_mov_b32_e32 v1, s1
	v_mov_b32_e32 v2, s0
	flat_load_dwordx4 v[1:4], v[1:2]
	s_waitcnt vmcnt(0) lgkmcnt(0)
	v_cmp_eq_f64_e32 vcc, 0, v[5:6]
	v_cmp_eq_f64_e64 s[0:1], 0, v[7:8]
	s_and_b64 s[8:9], vcc, s[0:1]
	s_mov_b64 s[0:1], -1
	s_and_saveexec_b64 s[2:3], s[8:9]
	s_cbranch_execz .LBB108_2
; %bb.1:
	v_cmp_neq_f64_e32 vcc, 1.0, v[1:2]
	v_cmp_neq_f64_e64 s[0:1], 0, v[3:4]
	s_or_b64 s[0:1], vcc, s[0:1]
	s_orn2_b64 s[0:1], s[0:1], exec
.LBB108_2:
	s_or_b64 exec, exec, s[2:3]
	s_and_saveexec_b64 s[2:3], s[0:1]
	s_cbranch_execz .LBB108_35
; %bb.3:
	s_load_dwordx2 s[0:1], s[4:5], 0x18
	s_load_dword s2, s[4:5], 0x4
	v_mul_u32_u24_e32 v10, 0x2493, v0
	v_mov_b32_e32 v9, 7
	v_mul_lo_u16_sdwa v10, v10, v9 dst_sel:DWORD dst_unused:UNUSED_PAD src0_sel:WORD_1 src1_sel:DWORD
	v_sub_u16_e32 v18, v0, v10
	s_waitcnt lgkmcnt(0)
	s_cmp_lg_u32 s2, 1
	s_cselect_b64 s[12:13], -1, 0
	s_and_b64 vcc, exec, s[12:13]
	v_mov_b32_e32 v13, v18
	s_cbranch_vccnz .LBB108_5
; %bb.4:
	s_movk_i32 s2, 0x1c72
	v_mul_u32_u24_sdwa v10, v0, s2 dst_sel:DWORD dst_unused:UNUSED_PAD src0_sel:WORD_0 src1_sel:DWORD
	v_mov_b32_e32 v11, 37
	v_mul_lo_u16_sdwa v11, v10, v11 dst_sel:DWORD dst_unused:UNUSED_PAD src0_sel:WORD_1 src1_sel:DWORD
	v_mul_lo_u16_sdwa v9, v11, v9 dst_sel:DWORD dst_unused:UNUSED_PAD src0_sel:BYTE_1 src1_sel:DWORD
	v_sub_u16_sdwa v9, v10, v9 dst_sel:DWORD dst_unused:UNUSED_PAD src0_sel:WORD_1 src1_sel:DWORD
	v_and_b32_e32 v13, 0xff, v9
.LBB108_5:
	s_ashr_i32 s7, s6, 31
	s_lshl_b64 s[2:3], s[6:7], 2
	s_add_u32 s0, s0, s2
	s_addc_u32 s1, s1, s3
	s_load_dwordx2 s[16:17], s[0:1], 0x0
	s_load_dwordx2 s[8:9], s[4:5], 0x50
	v_mov_b32_e32 v11, 0
	v_mov_b32_e32 v9, 0
	;; [unrolled: 1-line block ×3, first 2 shown]
	s_waitcnt lgkmcnt(0)
	s_cmp_ge_i32 s16, s17
	v_mov_b32_e32 v10, 0
	s_cbranch_scc1 .LBB108_10
; %bb.6:
	s_load_dwordx4 s[0:3], s[4:5], 0x20
	s_load_dwordx2 s[14:15], s[4:5], 0x38
	v_mad_u64_u32 v[9:10], s[4:5], s16, 63, v[0:1]
	s_movk_i32 s4, 0x411
	v_mul_u32_u24_sdwa v19, v0, s4 dst_sel:DWORD dst_unused:UNUSED_PAD src0_sel:WORD_0 src1_sel:DWORD
	s_mul_i32 s4, s10, 63
	v_mov_b32_e32 v11, 0
	v_subrev_u32_e32 v14, s4, v9
	v_mov_b32_e32 v12, 0
	v_mov_b32_e32 v9, v11
	s_sub_i32 s7, s17, s10
	s_sub_i32 s11, s16, s10
	v_mov_b32_e32 v15, 0
	v_mov_b32_e32 v10, v12
	s_branch .LBB108_8
.LBB108_7:                              ;   in Loop: Header=BB108_8 Depth=1
	s_or_b64 exec, exec, s[4:5]
	s_add_i32 s11, s11, 1
	s_cmp_ge_i32 s11, s7
	v_add_u32_e32 v14, 63, v14
	s_cbranch_scc1 .LBB108_10
.LBB108_8:                              ; =>This Inner Loop Header: Depth=1
	v_add_u32_sdwa v16, v19, s11 dst_sel:DWORD dst_unused:UNUSED_PAD src0_sel:WORD_1 src1_sel:DWORD
	v_cmp_gt_i32_e32 vcc, s7, v16
	s_and_saveexec_b64 s[4:5], vcc
	s_cbranch_execz .LBB108_7
; %bb.9:                                ;   in Loop: Header=BB108_8 Depth=1
	v_ashrrev_i32_e32 v17, 31, v16
	v_lshlrev_b64 v[16:17], 2, v[16:17]
	s_waitcnt lgkmcnt(0)
	v_mov_b32_e32 v20, s1
	v_add_co_u32_e32 v16, vcc, s0, v16
	v_addc_co_u32_e32 v17, vcc, v20, v17, vcc
	global_load_dword v20, v[16:17], off
	v_lshlrev_b64 v[16:17], 4, v[14:15]
	v_mov_b32_e32 v21, s3
	v_add_co_u32_e32 v16, vcc, s2, v16
	v_addc_co_u32_e32 v17, vcc, v21, v17, vcc
	v_mov_b32_e32 v26, s15
	s_waitcnt vmcnt(0)
	v_subrev_u32_e32 v20, s10, v20
	v_mad_u64_u32 v[24:25], s[16:17], v20, 7, v[13:14]
	global_load_dwordx4 v[20:23], v[16:17], off
	v_ashrrev_i32_e32 v25, 31, v24
	v_lshlrev_b64 v[16:17], 4, v[24:25]
	v_add_co_u32_e32 v16, vcc, s14, v16
	v_addc_co_u32_e32 v17, vcc, v26, v17, vcc
	global_load_dwordx4 v[24:27], v[16:17], off
	s_waitcnt vmcnt(0)
	v_fma_f64 v[9:10], v[20:21], v[24:25], v[9:10]
	v_fma_f64 v[11:12], v[22:23], v[24:25], v[11:12]
	v_fma_f64 v[9:10], -v[22:23], v[26:27], v[9:10]
	v_fma_f64 v[11:12], v[20:21], v[26:27], v[11:12]
	s_branch .LBB108_7
.LBB108_10:
	v_lshlrev_b32_e32 v17, 4, v0
	s_and_b64 vcc, exec, s[12:13]
	ds_write_b128 v17, v[9:12]
	s_waitcnt lgkmcnt(0)
	; wave barrier
	s_cbranch_vccz .LBB108_20
; %bb.11:
	v_cmp_gt_u16_e32 vcc, 3, v18
	s_and_saveexec_b64 s[0:1], vcc
	s_cbranch_execz .LBB108_13
; %bb.12:
	ds_read_b128 v[13:16], v17 offset:64
	ds_read_b128 v[19:22], v17
	s_waitcnt lgkmcnt(0)
	v_add_f64 v[13:14], v[13:14], v[19:20]
	v_add_f64 v[15:16], v[15:16], v[21:22]
	ds_write_b128 v17, v[13:16]
.LBB108_13:
	s_or_b64 exec, exec, s[0:1]
	v_cmp_gt_u16_e32 vcc, 2, v18
	s_waitcnt lgkmcnt(0)
	; wave barrier
	s_and_saveexec_b64 s[0:1], vcc
	s_cbranch_execz .LBB108_15
; %bb.14:
	ds_read_b128 v[13:16], v17
	ds_read_b128 v[19:22], v17 offset:32
	s_waitcnt lgkmcnt(0)
	v_add_f64 v[13:14], v[19:20], v[13:14]
	v_add_f64 v[15:16], v[21:22], v[15:16]
	ds_write_b128 v17, v[13:16]
.LBB108_15:
	s_or_b64 exec, exec, s[0:1]
	v_cmp_eq_u16_e32 vcc, 0, v18
	s_waitcnt lgkmcnt(0)
	; wave barrier
	s_and_saveexec_b64 s[0:1], vcc
	s_cbranch_execz .LBB108_17
; %bb.16:
	ds_read_b128 v[13:16], v17
	ds_read_b128 v[18:21], v17 offset:16
	s_waitcnt lgkmcnt(0)
	v_add_f64 v[13:14], v[18:19], v[13:14]
	v_add_f64 v[15:16], v[20:21], v[15:16]
	ds_write_b128 v17, v[13:16]
.LBB108_17:
	s_or_b64 exec, exec, s[0:1]
	v_mov_b32_e32 v16, v12
	v_mov_b32_e32 v14, v10
	v_cmp_gt_u32_e32 vcc, 9, v0
	v_mov_b32_e32 v15, v11
	v_mov_b32_e32 v13, v9
	s_waitcnt lgkmcnt(0)
	; wave barrier
	s_and_saveexec_b64 s[0:1], vcc
; %bb.18:
	s_movk_i32 s2, 0x60
	v_mad_u32_u24 v13, v0, s2, v17
	ds_read_b128 v[13:16], v13
; %bb.19:
	s_or_b64 exec, exec, s[0:1]
	s_branch .LBB108_30
.LBB108_20:
                                        ; implicit-def: $vgpr15_vgpr16
	s_cbranch_execz .LBB108_30
; %bb.21:
	v_cmp_gt_u32_e32 vcc, 27, v0
	s_and_saveexec_b64 s[0:1], vcc
	s_cbranch_execz .LBB108_23
; %bb.22:
	s_waitcnt lgkmcnt(0)
	ds_read_b128 v[13:16], v17 offset:576
	ds_read_b128 v[18:21], v17
	s_waitcnt lgkmcnt(0)
	v_add_f64 v[13:14], v[13:14], v[18:19]
	v_add_f64 v[15:16], v[15:16], v[20:21]
	ds_write_b128 v17, v[13:16]
.LBB108_23:
	s_or_b64 exec, exec, s[0:1]
	v_cmp_gt_u32_e32 vcc, 18, v0
	s_waitcnt lgkmcnt(0)
	; wave barrier
	s_and_saveexec_b64 s[0:1], vcc
	s_cbranch_execz .LBB108_25
; %bb.24:
	ds_read_b128 v[13:16], v17 offset:288
	ds_read_b128 v[18:21], v17
	s_waitcnt lgkmcnt(0)
	v_add_f64 v[13:14], v[13:14], v[18:19]
	v_add_f64 v[15:16], v[15:16], v[20:21]
	ds_write_b128 v17, v[13:16]
.LBB108_25:
	s_or_b64 exec, exec, s[0:1]
	v_cmp_lt_u32_e32 vcc, 8, v0
	s_waitcnt lgkmcnt(0)
	s_and_saveexec_b64 s[0:1], vcc
	s_xor_b64 s[0:1], exec, s[0:1]
; %bb.26:
                                        ; implicit-def: $vgpr17
; %bb.27:
	s_andn2_saveexec_b64 s[0:1], s[0:1]
	s_cbranch_execz .LBB108_29
; %bb.28:
	ds_read_b128 v[9:12], v17 offset:144
	ds_read_b128 v[13:16], v17
	s_waitcnt lgkmcnt(0)
	v_add_f64 v[9:10], v[9:10], v[13:14]
	v_add_f64 v[11:12], v[11:12], v[15:16]
	ds_write_b128 v17, v[9:12]
	s_waitcnt lgkmcnt(0)
	ds_read_b128 v[9:12], v17
.LBB108_29:
	s_or_b64 exec, exec, s[0:1]
	s_waitcnt lgkmcnt(0)
	v_mov_b32_e32 v16, v12
	v_mov_b32_e32 v14, v10
	;; [unrolled: 1-line block ×4, first 2 shown]
.LBB108_30:
	v_cmp_gt_u32_e32 vcc, 9, v0
	s_and_b64 exec, exec, vcc
	s_cbranch_execz .LBB108_35
; %bb.31:
	s_waitcnt lgkmcnt(0)
	v_mul_f64 v[9:10], v[15:16], -v[7:8]
	v_mul_f64 v[11:12], v[5:6], v[15:16]
	v_cmp_eq_f64_e32 vcc, 0, v[1:2]
	v_cmp_eq_f64_e64 s[0:1], 0, v[3:4]
	v_fma_f64 v[5:6], v[5:6], v[13:14], v[9:10]
	v_fma_f64 v[7:8], v[7:8], v[13:14], v[11:12]
	s_and_b64 s[0:1], vcc, s[0:1]
	s_and_saveexec_b64 s[2:3], s[0:1]
	s_xor_b64 s[0:1], exec, s[2:3]
	s_cbranch_execz .LBB108_33
; %bb.32:
	v_mad_u64_u32 v[0:1], s[2:3], s6, 9, v[0:1]
	v_mov_b32_e32 v1, 0
	v_mov_b32_e32 v2, s9
	v_lshlrev_b64 v[0:1], 4, v[0:1]
	v_add_co_u32_e32 v0, vcc, s8, v0
	v_addc_co_u32_e32 v1, vcc, v2, v1, vcc
	global_store_dwordx4 v[0:1], v[5:8], off
                                        ; implicit-def: $vgpr0
                                        ; implicit-def: $vgpr1_vgpr2
                                        ; implicit-def: $vgpr5_vgpr6
.LBB108_33:
	s_andn2_saveexec_b64 s[0:1], s[0:1]
	s_cbranch_execz .LBB108_35
; %bb.34:
	v_mad_u64_u32 v[9:10], s[0:1], s6, 9, v[0:1]
	v_mov_b32_e32 v10, 0
	v_mov_b32_e32 v0, s9
	v_lshlrev_b64 v[9:10], 4, v[9:10]
	v_add_co_u32_e32 v13, vcc, s8, v9
	v_addc_co_u32_e32 v14, vcc, v0, v10, vcc
	global_load_dwordx4 v[9:12], v[13:14], off
	s_waitcnt vmcnt(0)
	v_fma_f64 v[5:6], v[1:2], v[9:10], v[5:6]
	v_fma_f64 v[7:8], v[3:4], v[9:10], v[7:8]
	v_fma_f64 v[3:4], -v[3:4], v[11:12], v[5:6]
	v_fma_f64 v[5:6], v[1:2], v[11:12], v[7:8]
	global_store_dwordx4 v[13:14], v[3:6], off
.LBB108_35:
	s_endpgm
	.section	.rodata,"a",@progbits
	.p2align	6, 0x0
	.amdhsa_kernel _ZN9rocsparseL22gebsrmvn_mxn_16_kernelILj63ELj9ELj7E21rocsparse_complex_numIdEEEvi20rocsparse_direction_NS_24const_host_device_scalarIT2_EEPKiS8_PKS5_iiSA_S6_PS5_21rocsparse_index_base_b
		.amdhsa_group_segment_fixed_size 1008
		.amdhsa_private_segment_fixed_size 0
		.amdhsa_kernarg_size 96
		.amdhsa_user_sgpr_count 6
		.amdhsa_user_sgpr_private_segment_buffer 1
		.amdhsa_user_sgpr_dispatch_ptr 0
		.amdhsa_user_sgpr_queue_ptr 0
		.amdhsa_user_sgpr_kernarg_segment_ptr 1
		.amdhsa_user_sgpr_dispatch_id 0
		.amdhsa_user_sgpr_flat_scratch_init 0
		.amdhsa_user_sgpr_private_segment_size 0
		.amdhsa_uses_dynamic_stack 0
		.amdhsa_system_sgpr_private_segment_wavefront_offset 0
		.amdhsa_system_sgpr_workgroup_id_x 1
		.amdhsa_system_sgpr_workgroup_id_y 0
		.amdhsa_system_sgpr_workgroup_id_z 0
		.amdhsa_system_sgpr_workgroup_info 0
		.amdhsa_system_vgpr_workitem_id 0
		.amdhsa_next_free_vgpr 28
		.amdhsa_next_free_sgpr 18
		.amdhsa_reserve_vcc 1
		.amdhsa_reserve_flat_scratch 0
		.amdhsa_float_round_mode_32 0
		.amdhsa_float_round_mode_16_64 0
		.amdhsa_float_denorm_mode_32 3
		.amdhsa_float_denorm_mode_16_64 3
		.amdhsa_dx10_clamp 1
		.amdhsa_ieee_mode 1
		.amdhsa_fp16_overflow 0
		.amdhsa_exception_fp_ieee_invalid_op 0
		.amdhsa_exception_fp_denorm_src 0
		.amdhsa_exception_fp_ieee_div_zero 0
		.amdhsa_exception_fp_ieee_overflow 0
		.amdhsa_exception_fp_ieee_underflow 0
		.amdhsa_exception_fp_ieee_inexact 0
		.amdhsa_exception_int_div_zero 0
	.end_amdhsa_kernel
	.section	.text._ZN9rocsparseL22gebsrmvn_mxn_16_kernelILj63ELj9ELj7E21rocsparse_complex_numIdEEEvi20rocsparse_direction_NS_24const_host_device_scalarIT2_EEPKiS8_PKS5_iiSA_S6_PS5_21rocsparse_index_base_b,"axG",@progbits,_ZN9rocsparseL22gebsrmvn_mxn_16_kernelILj63ELj9ELj7E21rocsparse_complex_numIdEEEvi20rocsparse_direction_NS_24const_host_device_scalarIT2_EEPKiS8_PKS5_iiSA_S6_PS5_21rocsparse_index_base_b,comdat
.Lfunc_end108:
	.size	_ZN9rocsparseL22gebsrmvn_mxn_16_kernelILj63ELj9ELj7E21rocsparse_complex_numIdEEEvi20rocsparse_direction_NS_24const_host_device_scalarIT2_EEPKiS8_PKS5_iiSA_S6_PS5_21rocsparse_index_base_b, .Lfunc_end108-_ZN9rocsparseL22gebsrmvn_mxn_16_kernelILj63ELj9ELj7E21rocsparse_complex_numIdEEEvi20rocsparse_direction_NS_24const_host_device_scalarIT2_EEPKiS8_PKS5_iiSA_S6_PS5_21rocsparse_index_base_b
                                        ; -- End function
	.set _ZN9rocsparseL22gebsrmvn_mxn_16_kernelILj63ELj9ELj7E21rocsparse_complex_numIdEEEvi20rocsparse_direction_NS_24const_host_device_scalarIT2_EEPKiS8_PKS5_iiSA_S6_PS5_21rocsparse_index_base_b.num_vgpr, 28
	.set _ZN9rocsparseL22gebsrmvn_mxn_16_kernelILj63ELj9ELj7E21rocsparse_complex_numIdEEEvi20rocsparse_direction_NS_24const_host_device_scalarIT2_EEPKiS8_PKS5_iiSA_S6_PS5_21rocsparse_index_base_b.num_agpr, 0
	.set _ZN9rocsparseL22gebsrmvn_mxn_16_kernelILj63ELj9ELj7E21rocsparse_complex_numIdEEEvi20rocsparse_direction_NS_24const_host_device_scalarIT2_EEPKiS8_PKS5_iiSA_S6_PS5_21rocsparse_index_base_b.numbered_sgpr, 18
	.set _ZN9rocsparseL22gebsrmvn_mxn_16_kernelILj63ELj9ELj7E21rocsparse_complex_numIdEEEvi20rocsparse_direction_NS_24const_host_device_scalarIT2_EEPKiS8_PKS5_iiSA_S6_PS5_21rocsparse_index_base_b.num_named_barrier, 0
	.set _ZN9rocsparseL22gebsrmvn_mxn_16_kernelILj63ELj9ELj7E21rocsparse_complex_numIdEEEvi20rocsparse_direction_NS_24const_host_device_scalarIT2_EEPKiS8_PKS5_iiSA_S6_PS5_21rocsparse_index_base_b.private_seg_size, 0
	.set _ZN9rocsparseL22gebsrmvn_mxn_16_kernelILj63ELj9ELj7E21rocsparse_complex_numIdEEEvi20rocsparse_direction_NS_24const_host_device_scalarIT2_EEPKiS8_PKS5_iiSA_S6_PS5_21rocsparse_index_base_b.uses_vcc, 1
	.set _ZN9rocsparseL22gebsrmvn_mxn_16_kernelILj63ELj9ELj7E21rocsparse_complex_numIdEEEvi20rocsparse_direction_NS_24const_host_device_scalarIT2_EEPKiS8_PKS5_iiSA_S6_PS5_21rocsparse_index_base_b.uses_flat_scratch, 0
	.set _ZN9rocsparseL22gebsrmvn_mxn_16_kernelILj63ELj9ELj7E21rocsparse_complex_numIdEEEvi20rocsparse_direction_NS_24const_host_device_scalarIT2_EEPKiS8_PKS5_iiSA_S6_PS5_21rocsparse_index_base_b.has_dyn_sized_stack, 0
	.set _ZN9rocsparseL22gebsrmvn_mxn_16_kernelILj63ELj9ELj7E21rocsparse_complex_numIdEEEvi20rocsparse_direction_NS_24const_host_device_scalarIT2_EEPKiS8_PKS5_iiSA_S6_PS5_21rocsparse_index_base_b.has_recursion, 0
	.set _ZN9rocsparseL22gebsrmvn_mxn_16_kernelILj63ELj9ELj7E21rocsparse_complex_numIdEEEvi20rocsparse_direction_NS_24const_host_device_scalarIT2_EEPKiS8_PKS5_iiSA_S6_PS5_21rocsparse_index_base_b.has_indirect_call, 0
	.section	.AMDGPU.csdata,"",@progbits
; Kernel info:
; codeLenInByte = 1316
; TotalNumSgprs: 22
; NumVgprs: 28
; ScratchSize: 0
; MemoryBound: 0
; FloatMode: 240
; IeeeMode: 1
; LDSByteSize: 1008 bytes/workgroup (compile time only)
; SGPRBlocks: 2
; VGPRBlocks: 6
; NumSGPRsForWavesPerEU: 22
; NumVGPRsForWavesPerEU: 28
; Occupancy: 9
; WaveLimiterHint : 1
; COMPUTE_PGM_RSRC2:SCRATCH_EN: 0
; COMPUTE_PGM_RSRC2:USER_SGPR: 6
; COMPUTE_PGM_RSRC2:TRAP_HANDLER: 0
; COMPUTE_PGM_RSRC2:TGID_X_EN: 1
; COMPUTE_PGM_RSRC2:TGID_Y_EN: 0
; COMPUTE_PGM_RSRC2:TGID_Z_EN: 0
; COMPUTE_PGM_RSRC2:TIDIG_COMP_CNT: 0
	.section	.text._ZN9rocsparseL22gebsrmvn_mxn_16_kernelILj72ELj9ELj8E21rocsparse_complex_numIdEEEvi20rocsparse_direction_NS_24const_host_device_scalarIT2_EEPKiS8_PKS5_iiSA_S6_PS5_21rocsparse_index_base_b,"axG",@progbits,_ZN9rocsparseL22gebsrmvn_mxn_16_kernelILj72ELj9ELj8E21rocsparse_complex_numIdEEEvi20rocsparse_direction_NS_24const_host_device_scalarIT2_EEPKiS8_PKS5_iiSA_S6_PS5_21rocsparse_index_base_b,comdat
	.globl	_ZN9rocsparseL22gebsrmvn_mxn_16_kernelILj72ELj9ELj8E21rocsparse_complex_numIdEEEvi20rocsparse_direction_NS_24const_host_device_scalarIT2_EEPKiS8_PKS5_iiSA_S6_PS5_21rocsparse_index_base_b ; -- Begin function _ZN9rocsparseL22gebsrmvn_mxn_16_kernelILj72ELj9ELj8E21rocsparse_complex_numIdEEEvi20rocsparse_direction_NS_24const_host_device_scalarIT2_EEPKiS8_PKS5_iiSA_S6_PS5_21rocsparse_index_base_b
	.p2align	8
	.type	_ZN9rocsparseL22gebsrmvn_mxn_16_kernelILj72ELj9ELj8E21rocsparse_complex_numIdEEEvi20rocsparse_direction_NS_24const_host_device_scalarIT2_EEPKiS8_PKS5_iiSA_S6_PS5_21rocsparse_index_base_b,@function
_ZN9rocsparseL22gebsrmvn_mxn_16_kernelILj72ELj9ELj8E21rocsparse_complex_numIdEEEvi20rocsparse_direction_NS_24const_host_device_scalarIT2_EEPKiS8_PKS5_iiSA_S6_PS5_21rocsparse_index_base_b: ; @_ZN9rocsparseL22gebsrmvn_mxn_16_kernelILj72ELj9ELj8E21rocsparse_complex_numIdEEEvi20rocsparse_direction_NS_24const_host_device_scalarIT2_EEPKiS8_PKS5_iiSA_S6_PS5_21rocsparse_index_base_b
; %bb.0:
	s_load_dwordx2 s[0:1], s[4:5], 0x8
	s_load_dwordx2 s[2:3], s[4:5], 0x40
	;; [unrolled: 1-line block ×3, first 2 shown]
	s_add_u32 s7, s4, 8
	s_addc_u32 s8, s5, 0
	s_add_u32 s9, s4, 64
	s_addc_u32 s12, s5, 0
	s_waitcnt lgkmcnt(0)
	s_bitcmp1_b32 s11, 0
	s_cselect_b32 s1, s8, s1
	s_cselect_b32 s0, s7, s0
	v_mov_b32_e32 v1, s0
	v_mov_b32_e32 v2, s1
	flat_load_dwordx4 v[5:8], v[1:2]
	s_cselect_b32 s0, s12, s3
	s_cselect_b32 s1, s9, s2
	v_mov_b32_e32 v1, s1
	v_mov_b32_e32 v2, s0
	flat_load_dwordx4 v[1:4], v[1:2]
	s_waitcnt vmcnt(0) lgkmcnt(0)
	v_cmp_eq_f64_e32 vcc, 0, v[5:6]
	v_cmp_eq_f64_e64 s[0:1], 0, v[7:8]
	s_and_b64 s[8:9], vcc, s[0:1]
	s_mov_b64 s[0:1], -1
	s_and_saveexec_b64 s[2:3], s[8:9]
	s_cbranch_execz .LBB109_2
; %bb.1:
	v_cmp_neq_f64_e32 vcc, 1.0, v[1:2]
	v_cmp_neq_f64_e64 s[0:1], 0, v[3:4]
	s_or_b64 s[0:1], vcc, s[0:1]
	s_orn2_b64 s[0:1], s[0:1], exec
.LBB109_2:
	s_or_b64 exec, exec, s[2:3]
	s_and_saveexec_b64 s[2:3], s[0:1]
	s_cbranch_execz .LBB109_35
; %bb.3:
	s_load_dword s2, s[4:5], 0x4
	s_load_dwordx2 s[0:1], s[4:5], 0x18
	v_and_b32_e32 v18, 7, v0
	v_mov_b32_e32 v17, v18
	s_waitcnt lgkmcnt(0)
	s_cmp_lg_u32 s2, 1
	s_cselect_b64 s[12:13], -1, 0
	s_and_b64 vcc, exec, s[12:13]
	s_cbranch_vccnz .LBB109_5
; %bb.4:
	v_mul_u32_u24_e32 v9, 0x1c72, v0
	v_bfe_u32 v17, v9, 16, 3
.LBB109_5:
	s_ashr_i32 s7, s6, 31
	s_lshl_b64 s[2:3], s[6:7], 2
	s_add_u32 s0, s0, s2
	s_addc_u32 s1, s1, s3
	s_load_dwordx2 s[16:17], s[0:1], 0x0
	s_load_dwordx2 s[8:9], s[4:5], 0x50
	v_mov_b32_e32 v11, 0
	v_mov_b32_e32 v9, 0
	;; [unrolled: 1-line block ×3, first 2 shown]
	s_waitcnt lgkmcnt(0)
	s_cmp_ge_i32 s16, s17
	v_mov_b32_e32 v10, 0
	s_cbranch_scc1 .LBB109_10
; %bb.6:
	s_load_dwordx4 s[0:3], s[4:5], 0x20
	s_load_dwordx2 s[14:15], s[4:5], 0x38
	s_mul_i32 s4, s16, 0x48
	v_add_u32_e32 v9, s4, v0
	s_mul_i32 s4, s10, 0x48
	v_mov_b32_e32 v11, 0
	v_subrev_u32_e32 v13, s4, v9
	v_mov_b32_e32 v12, 0
	v_mov_b32_e32 v9, v11
	s_sub_i32 s7, s17, s10
	s_sub_i32 s11, s16, s10
	v_mul_u32_u24_e32 v19, 0x38f, v0
	v_mov_b32_e32 v14, 0
	v_mov_b32_e32 v10, v12
	s_branch .LBB109_8
.LBB109_7:                              ;   in Loop: Header=BB109_8 Depth=1
	s_or_b64 exec, exec, s[4:5]
	s_add_i32 s11, s11, 1
	s_cmp_ge_i32 s11, s7
	v_add_u32_e32 v13, 0x48, v13
	s_cbranch_scc1 .LBB109_10
.LBB109_8:                              ; =>This Inner Loop Header: Depth=1
	v_add_u32_sdwa v15, v19, s11 dst_sel:DWORD dst_unused:UNUSED_PAD src0_sel:WORD_1 src1_sel:DWORD
	v_cmp_gt_i32_e32 vcc, s7, v15
	s_and_saveexec_b64 s[4:5], vcc
	s_cbranch_execz .LBB109_7
; %bb.9:                                ;   in Loop: Header=BB109_8 Depth=1
	v_ashrrev_i32_e32 v16, 31, v15
	v_lshlrev_b64 v[15:16], 2, v[15:16]
	s_waitcnt lgkmcnt(0)
	v_mov_b32_e32 v20, s1
	v_add_co_u32_e32 v15, vcc, s0, v15
	v_addc_co_u32_e32 v16, vcc, v20, v16, vcc
	global_load_dword v24, v[15:16], off
	v_lshlrev_b64 v[15:16], 4, v[13:14]
	v_mov_b32_e32 v20, s3
	v_add_co_u32_e32 v15, vcc, s2, v15
	v_addc_co_u32_e32 v16, vcc, v20, v16, vcc
	global_load_dwordx4 v[20:23], v[15:16], off
	v_mov_b32_e32 v25, s15
	s_waitcnt vmcnt(1)
	v_subrev_u32_e32 v15, s10, v24
	v_lshl_or_b32 v15, v15, 3, v17
	v_ashrrev_i32_e32 v16, 31, v15
	v_lshlrev_b64 v[15:16], 4, v[15:16]
	v_add_co_u32_e32 v15, vcc, s14, v15
	v_addc_co_u32_e32 v16, vcc, v25, v16, vcc
	global_load_dwordx4 v[24:27], v[15:16], off
	s_waitcnt vmcnt(0)
	v_fma_f64 v[9:10], v[20:21], v[24:25], v[9:10]
	v_fma_f64 v[11:12], v[22:23], v[24:25], v[11:12]
	v_fma_f64 v[9:10], -v[22:23], v[26:27], v[9:10]
	v_fma_f64 v[11:12], v[20:21], v[26:27], v[11:12]
	s_branch .LBB109_7
.LBB109_10:
	v_lshlrev_b32_e32 v17, 4, v0
	s_and_b64 vcc, exec, s[12:13]
	ds_write_b128 v17, v[9:12]
	s_waitcnt lgkmcnt(0)
	s_barrier
	s_cbranch_vccz .LBB109_20
; %bb.11:
	v_cmp_gt_u32_e32 vcc, 4, v18
	s_and_saveexec_b64 s[0:1], vcc
	s_cbranch_execz .LBB109_13
; %bb.12:
	ds_read_b128 v[13:16], v17 offset:64
	ds_read_b128 v[19:22], v17
	s_waitcnt lgkmcnt(0)
	v_add_f64 v[13:14], v[13:14], v[19:20]
	v_add_f64 v[15:16], v[15:16], v[21:22]
	ds_write_b128 v17, v[13:16]
.LBB109_13:
	s_or_b64 exec, exec, s[0:1]
	v_cmp_gt_u32_e32 vcc, 2, v18
	s_waitcnt lgkmcnt(0)
	s_barrier
	s_and_saveexec_b64 s[0:1], vcc
	s_cbranch_execz .LBB109_15
; %bb.14:
	ds_read_b128 v[13:16], v17
	ds_read_b128 v[19:22], v17 offset:32
	s_waitcnt lgkmcnt(0)
	v_add_f64 v[13:14], v[19:20], v[13:14]
	v_add_f64 v[15:16], v[21:22], v[15:16]
	ds_write_b128 v17, v[13:16]
.LBB109_15:
	s_or_b64 exec, exec, s[0:1]
	v_cmp_eq_u32_e32 vcc, 0, v18
	s_waitcnt lgkmcnt(0)
	s_barrier
	s_and_saveexec_b64 s[0:1], vcc
	s_cbranch_execz .LBB109_17
; %bb.16:
	ds_read_b128 v[13:16], v17
	ds_read_b128 v[18:21], v17 offset:16
	s_waitcnt lgkmcnt(0)
	v_add_f64 v[13:14], v[18:19], v[13:14]
	v_add_f64 v[15:16], v[20:21], v[15:16]
	ds_write_b128 v17, v[13:16]
.LBB109_17:
	s_or_b64 exec, exec, s[0:1]
	v_mov_b32_e32 v16, v12
	v_mov_b32_e32 v14, v10
	v_cmp_gt_u32_e32 vcc, 9, v0
	v_mov_b32_e32 v15, v11
	v_mov_b32_e32 v13, v9
	s_waitcnt lgkmcnt(0)
	s_barrier
	s_and_saveexec_b64 s[0:1], vcc
; %bb.18:
	s_movk_i32 s2, 0x70
	v_mad_u32_u24 v13, v0, s2, v17
	ds_read_b128 v[13:16], v13
; %bb.19:
	s_or_b64 exec, exec, s[0:1]
	s_branch .LBB109_30
.LBB109_20:
                                        ; implicit-def: $vgpr15_vgpr16
	s_cbranch_execz .LBB109_30
; %bb.21:
	v_cmp_gt_u32_e32 vcc, 36, v0
	s_and_saveexec_b64 s[0:1], vcc
	s_cbranch_execz .LBB109_23
; %bb.22:
	s_waitcnt lgkmcnt(0)
	ds_read_b128 v[13:16], v17 offset:576
	ds_read_b128 v[18:21], v17
	s_waitcnt lgkmcnt(0)
	v_add_f64 v[13:14], v[13:14], v[18:19]
	v_add_f64 v[15:16], v[15:16], v[20:21]
	ds_write_b128 v17, v[13:16]
.LBB109_23:
	s_or_b64 exec, exec, s[0:1]
	v_cmp_gt_u32_e32 vcc, 18, v0
	s_waitcnt lgkmcnt(0)
	s_barrier
	s_and_saveexec_b64 s[0:1], vcc
	s_cbranch_execz .LBB109_25
; %bb.24:
	ds_read_b128 v[13:16], v17 offset:288
	ds_read_b128 v[18:21], v17
	s_waitcnt lgkmcnt(0)
	v_add_f64 v[13:14], v[13:14], v[18:19]
	v_add_f64 v[15:16], v[15:16], v[20:21]
	ds_write_b128 v17, v[13:16]
.LBB109_25:
	s_or_b64 exec, exec, s[0:1]
	v_cmp_lt_u32_e32 vcc, 8, v0
	s_waitcnt lgkmcnt(0)
	s_and_saveexec_b64 s[0:1], vcc
	s_xor_b64 s[0:1], exec, s[0:1]
; %bb.26:
                                        ; implicit-def: $vgpr17
; %bb.27:
	s_andn2_saveexec_b64 s[0:1], s[0:1]
	s_cbranch_execz .LBB109_29
; %bb.28:
	ds_read_b128 v[9:12], v17 offset:144
	ds_read_b128 v[13:16], v17
	s_waitcnt lgkmcnt(0)
	v_add_f64 v[9:10], v[9:10], v[13:14]
	v_add_f64 v[11:12], v[11:12], v[15:16]
	ds_write_b128 v17, v[9:12]
	s_waitcnt lgkmcnt(0)
	ds_read_b128 v[9:12], v17
.LBB109_29:
	s_or_b64 exec, exec, s[0:1]
	s_waitcnt lgkmcnt(0)
	v_mov_b32_e32 v16, v12
	v_mov_b32_e32 v14, v10
	v_mov_b32_e32 v15, v11
	v_mov_b32_e32 v13, v9
.LBB109_30:
	v_cmp_gt_u32_e32 vcc, 9, v0
	s_and_b64 exec, exec, vcc
	s_cbranch_execz .LBB109_35
; %bb.31:
	s_waitcnt lgkmcnt(0)
	v_mul_f64 v[9:10], v[15:16], -v[7:8]
	v_mul_f64 v[11:12], v[5:6], v[15:16]
	v_cmp_eq_f64_e32 vcc, 0, v[1:2]
	v_cmp_eq_f64_e64 s[0:1], 0, v[3:4]
	v_fma_f64 v[5:6], v[5:6], v[13:14], v[9:10]
	v_fma_f64 v[7:8], v[7:8], v[13:14], v[11:12]
	s_and_b64 s[0:1], vcc, s[0:1]
	s_and_saveexec_b64 s[2:3], s[0:1]
	s_xor_b64 s[0:1], exec, s[2:3]
	s_cbranch_execz .LBB109_33
; %bb.32:
	v_mad_u64_u32 v[0:1], s[2:3], s6, 9, v[0:1]
	v_mov_b32_e32 v1, 0
	v_mov_b32_e32 v2, s9
	v_lshlrev_b64 v[0:1], 4, v[0:1]
	v_add_co_u32_e32 v0, vcc, s8, v0
	v_addc_co_u32_e32 v1, vcc, v2, v1, vcc
	global_store_dwordx4 v[0:1], v[5:8], off
                                        ; implicit-def: $vgpr0
                                        ; implicit-def: $vgpr1_vgpr2
                                        ; implicit-def: $vgpr5_vgpr6
.LBB109_33:
	s_andn2_saveexec_b64 s[0:1], s[0:1]
	s_cbranch_execz .LBB109_35
; %bb.34:
	v_mad_u64_u32 v[9:10], s[0:1], s6, 9, v[0:1]
	v_mov_b32_e32 v10, 0
	v_mov_b32_e32 v0, s9
	v_lshlrev_b64 v[9:10], 4, v[9:10]
	v_add_co_u32_e32 v13, vcc, s8, v9
	v_addc_co_u32_e32 v14, vcc, v0, v10, vcc
	global_load_dwordx4 v[9:12], v[13:14], off
	s_waitcnt vmcnt(0)
	v_fma_f64 v[5:6], v[1:2], v[9:10], v[5:6]
	v_fma_f64 v[7:8], v[3:4], v[9:10], v[7:8]
	v_fma_f64 v[3:4], -v[3:4], v[11:12], v[5:6]
	v_fma_f64 v[5:6], v[1:2], v[11:12], v[7:8]
	global_store_dwordx4 v[13:14], v[3:6], off
.LBB109_35:
	s_endpgm
	.section	.rodata,"a",@progbits
	.p2align	6, 0x0
	.amdhsa_kernel _ZN9rocsparseL22gebsrmvn_mxn_16_kernelILj72ELj9ELj8E21rocsparse_complex_numIdEEEvi20rocsparse_direction_NS_24const_host_device_scalarIT2_EEPKiS8_PKS5_iiSA_S6_PS5_21rocsparse_index_base_b
		.amdhsa_group_segment_fixed_size 1152
		.amdhsa_private_segment_fixed_size 0
		.amdhsa_kernarg_size 96
		.amdhsa_user_sgpr_count 6
		.amdhsa_user_sgpr_private_segment_buffer 1
		.amdhsa_user_sgpr_dispatch_ptr 0
		.amdhsa_user_sgpr_queue_ptr 0
		.amdhsa_user_sgpr_kernarg_segment_ptr 1
		.amdhsa_user_sgpr_dispatch_id 0
		.amdhsa_user_sgpr_flat_scratch_init 0
		.amdhsa_user_sgpr_private_segment_size 0
		.amdhsa_uses_dynamic_stack 0
		.amdhsa_system_sgpr_private_segment_wavefront_offset 0
		.amdhsa_system_sgpr_workgroup_id_x 1
		.amdhsa_system_sgpr_workgroup_id_y 0
		.amdhsa_system_sgpr_workgroup_id_z 0
		.amdhsa_system_sgpr_workgroup_info 0
		.amdhsa_system_vgpr_workitem_id 0
		.amdhsa_next_free_vgpr 28
		.amdhsa_next_free_sgpr 18
		.amdhsa_reserve_vcc 1
		.amdhsa_reserve_flat_scratch 0
		.amdhsa_float_round_mode_32 0
		.amdhsa_float_round_mode_16_64 0
		.amdhsa_float_denorm_mode_32 3
		.amdhsa_float_denorm_mode_16_64 3
		.amdhsa_dx10_clamp 1
		.amdhsa_ieee_mode 1
		.amdhsa_fp16_overflow 0
		.amdhsa_exception_fp_ieee_invalid_op 0
		.amdhsa_exception_fp_denorm_src 0
		.amdhsa_exception_fp_ieee_div_zero 0
		.amdhsa_exception_fp_ieee_overflow 0
		.amdhsa_exception_fp_ieee_underflow 0
		.amdhsa_exception_fp_ieee_inexact 0
		.amdhsa_exception_int_div_zero 0
	.end_amdhsa_kernel
	.section	.text._ZN9rocsparseL22gebsrmvn_mxn_16_kernelILj72ELj9ELj8E21rocsparse_complex_numIdEEEvi20rocsparse_direction_NS_24const_host_device_scalarIT2_EEPKiS8_PKS5_iiSA_S6_PS5_21rocsparse_index_base_b,"axG",@progbits,_ZN9rocsparseL22gebsrmvn_mxn_16_kernelILj72ELj9ELj8E21rocsparse_complex_numIdEEEvi20rocsparse_direction_NS_24const_host_device_scalarIT2_EEPKiS8_PKS5_iiSA_S6_PS5_21rocsparse_index_base_b,comdat
.Lfunc_end109:
	.size	_ZN9rocsparseL22gebsrmvn_mxn_16_kernelILj72ELj9ELj8E21rocsparse_complex_numIdEEEvi20rocsparse_direction_NS_24const_host_device_scalarIT2_EEPKiS8_PKS5_iiSA_S6_PS5_21rocsparse_index_base_b, .Lfunc_end109-_ZN9rocsparseL22gebsrmvn_mxn_16_kernelILj72ELj9ELj8E21rocsparse_complex_numIdEEEvi20rocsparse_direction_NS_24const_host_device_scalarIT2_EEPKiS8_PKS5_iiSA_S6_PS5_21rocsparse_index_base_b
                                        ; -- End function
	.set _ZN9rocsparseL22gebsrmvn_mxn_16_kernelILj72ELj9ELj8E21rocsparse_complex_numIdEEEvi20rocsparse_direction_NS_24const_host_device_scalarIT2_EEPKiS8_PKS5_iiSA_S6_PS5_21rocsparse_index_base_b.num_vgpr, 28
	.set _ZN9rocsparseL22gebsrmvn_mxn_16_kernelILj72ELj9ELj8E21rocsparse_complex_numIdEEEvi20rocsparse_direction_NS_24const_host_device_scalarIT2_EEPKiS8_PKS5_iiSA_S6_PS5_21rocsparse_index_base_b.num_agpr, 0
	.set _ZN9rocsparseL22gebsrmvn_mxn_16_kernelILj72ELj9ELj8E21rocsparse_complex_numIdEEEvi20rocsparse_direction_NS_24const_host_device_scalarIT2_EEPKiS8_PKS5_iiSA_S6_PS5_21rocsparse_index_base_b.numbered_sgpr, 18
	.set _ZN9rocsparseL22gebsrmvn_mxn_16_kernelILj72ELj9ELj8E21rocsparse_complex_numIdEEEvi20rocsparse_direction_NS_24const_host_device_scalarIT2_EEPKiS8_PKS5_iiSA_S6_PS5_21rocsparse_index_base_b.num_named_barrier, 0
	.set _ZN9rocsparseL22gebsrmvn_mxn_16_kernelILj72ELj9ELj8E21rocsparse_complex_numIdEEEvi20rocsparse_direction_NS_24const_host_device_scalarIT2_EEPKiS8_PKS5_iiSA_S6_PS5_21rocsparse_index_base_b.private_seg_size, 0
	.set _ZN9rocsparseL22gebsrmvn_mxn_16_kernelILj72ELj9ELj8E21rocsparse_complex_numIdEEEvi20rocsparse_direction_NS_24const_host_device_scalarIT2_EEPKiS8_PKS5_iiSA_S6_PS5_21rocsparse_index_base_b.uses_vcc, 1
	.set _ZN9rocsparseL22gebsrmvn_mxn_16_kernelILj72ELj9ELj8E21rocsparse_complex_numIdEEEvi20rocsparse_direction_NS_24const_host_device_scalarIT2_EEPKiS8_PKS5_iiSA_S6_PS5_21rocsparse_index_base_b.uses_flat_scratch, 0
	.set _ZN9rocsparseL22gebsrmvn_mxn_16_kernelILj72ELj9ELj8E21rocsparse_complex_numIdEEEvi20rocsparse_direction_NS_24const_host_device_scalarIT2_EEPKiS8_PKS5_iiSA_S6_PS5_21rocsparse_index_base_b.has_dyn_sized_stack, 0
	.set _ZN9rocsparseL22gebsrmvn_mxn_16_kernelILj72ELj9ELj8E21rocsparse_complex_numIdEEEvi20rocsparse_direction_NS_24const_host_device_scalarIT2_EEPKiS8_PKS5_iiSA_S6_PS5_21rocsparse_index_base_b.has_recursion, 0
	.set _ZN9rocsparseL22gebsrmvn_mxn_16_kernelILj72ELj9ELj8E21rocsparse_complex_numIdEEEvi20rocsparse_direction_NS_24const_host_device_scalarIT2_EEPKiS8_PKS5_iiSA_S6_PS5_21rocsparse_index_base_b.has_indirect_call, 0
	.section	.AMDGPU.csdata,"",@progbits
; Kernel info:
; codeLenInByte = 1292
; TotalNumSgprs: 22
; NumVgprs: 28
; ScratchSize: 0
; MemoryBound: 0
; FloatMode: 240
; IeeeMode: 1
; LDSByteSize: 1152 bytes/workgroup (compile time only)
; SGPRBlocks: 2
; VGPRBlocks: 6
; NumSGPRsForWavesPerEU: 22
; NumVGPRsForWavesPerEU: 28
; Occupancy: 9
; WaveLimiterHint : 1
; COMPUTE_PGM_RSRC2:SCRATCH_EN: 0
; COMPUTE_PGM_RSRC2:USER_SGPR: 6
; COMPUTE_PGM_RSRC2:TRAP_HANDLER: 0
; COMPUTE_PGM_RSRC2:TGID_X_EN: 1
; COMPUTE_PGM_RSRC2:TGID_Y_EN: 0
; COMPUTE_PGM_RSRC2:TGID_Z_EN: 0
; COMPUTE_PGM_RSRC2:TIDIG_COMP_CNT: 0
	.section	.text._ZN9rocsparseL23gebsrmvn_general_kernelILj256ELj16E21rocsparse_complex_numIdEEEvi20rocsparse_direction_NS_24const_host_device_scalarIT1_EEPKiS8_PKS5_iiSA_S6_PS5_21rocsparse_index_base_b,"axG",@progbits,_ZN9rocsparseL23gebsrmvn_general_kernelILj256ELj16E21rocsparse_complex_numIdEEEvi20rocsparse_direction_NS_24const_host_device_scalarIT1_EEPKiS8_PKS5_iiSA_S6_PS5_21rocsparse_index_base_b,comdat
	.globl	_ZN9rocsparseL23gebsrmvn_general_kernelILj256ELj16E21rocsparse_complex_numIdEEEvi20rocsparse_direction_NS_24const_host_device_scalarIT1_EEPKiS8_PKS5_iiSA_S6_PS5_21rocsparse_index_base_b ; -- Begin function _ZN9rocsparseL23gebsrmvn_general_kernelILj256ELj16E21rocsparse_complex_numIdEEEvi20rocsparse_direction_NS_24const_host_device_scalarIT1_EEPKiS8_PKS5_iiSA_S6_PS5_21rocsparse_index_base_b
	.p2align	8
	.type	_ZN9rocsparseL23gebsrmvn_general_kernelILj256ELj16E21rocsparse_complex_numIdEEEvi20rocsparse_direction_NS_24const_host_device_scalarIT1_EEPKiS8_PKS5_iiSA_S6_PS5_21rocsparse_index_base_b,@function
_ZN9rocsparseL23gebsrmvn_general_kernelILj256ELj16E21rocsparse_complex_numIdEEEvi20rocsparse_direction_NS_24const_host_device_scalarIT1_EEPKiS8_PKS5_iiSA_S6_PS5_21rocsparse_index_base_b: ; @_ZN9rocsparseL23gebsrmvn_general_kernelILj256ELj16E21rocsparse_complex_numIdEEEvi20rocsparse_direction_NS_24const_host_device_scalarIT1_EEPKiS8_PKS5_iiSA_S6_PS5_21rocsparse_index_base_b
; %bb.0:
	s_load_dwordx2 s[0:1], s[4:5], 0x8
	s_load_dwordx2 s[2:3], s[4:5], 0x40
	;; [unrolled: 1-line block ×3, first 2 shown]
	s_add_u32 s7, s4, 8
	s_addc_u32 s8, s5, 0
	s_add_u32 s9, s4, 64
	s_addc_u32 s10, s5, 0
	s_waitcnt lgkmcnt(0)
	s_bitcmp1_b32 s13, 0
	s_cselect_b32 s1, s8, s1
	s_cselect_b32 s0, s7, s0
	v_mov_b32_e32 v1, s0
	v_mov_b32_e32 v2, s1
	flat_load_dwordx4 v[1:4], v[1:2]
	s_cselect_b32 s0, s10, s3
	s_cselect_b32 s1, s9, s2
	v_mov_b32_e32 v5, s1
	v_mov_b32_e32 v6, s0
	flat_load_dwordx4 v[5:8], v[5:6]
	s_waitcnt vmcnt(0) lgkmcnt(0)
	v_cmp_eq_f64_e32 vcc, 0, v[1:2]
	v_cmp_eq_f64_e64 s[0:1], 0, v[3:4]
	s_and_b64 s[8:9], vcc, s[0:1]
	s_mov_b64 s[0:1], -1
	s_and_saveexec_b64 s[2:3], s[8:9]
	s_cbranch_execz .LBB110_2
; %bb.1:
	v_cmp_neq_f64_e32 vcc, 1.0, v[5:6]
	v_cmp_neq_f64_e64 s[0:1], 0, v[7:8]
	s_or_b64 s[0:1], vcc, s[0:1]
	s_orn2_b64 s[0:1], s[0:1], exec
.LBB110_2:
	s_or_b64 exec, exec, s[2:3]
	s_and_saveexec_b64 s[2:3], s[0:1]
	s_cbranch_execz .LBB110_22
; %bb.3:
	s_load_dwordx2 s[14:15], s[4:5], 0x30
	v_lshrrev_b32_e32 v13, 4, v0
	s_waitcnt lgkmcnt(0)
	v_cmp_gt_i32_e32 vcc, s14, v13
	s_and_b64 exec, exec, vcc
	s_cbranch_execz .LBB110_22
; %bb.4:
	s_load_dwordx4 s[8:11], s[4:5], 0x18
	s_load_dword s20, s[4:5], 0x4
	s_ashr_i32 s7, s6, 31
	s_lshl_b64 s[0:1], s[6:7], 2
	v_cmp_eq_f64_e32 vcc, 0, v[5:6]
	s_waitcnt lgkmcnt(0)
	s_add_u32 s0, s8, s0
	s_addc_u32 s1, s9, s1
	s_load_dwordx2 s[2:3], s[0:1], 0x0
	s_load_dwordx2 s[8:9], s[4:5], 0x50
	;; [unrolled: 1-line block ×4, first 2 shown]
	v_cmp_eq_f64_e64 s[4:5], 0, v[7:8]
	s_waitcnt lgkmcnt(0)
	s_sub_i32 s13, s2, s12
	s_sub_i32 s33, s3, s12
	s_cmp_lt_i32 s2, s3
	s_cselect_b64 s[26:27], -1, 0
	s_cmp_lg_u32 s20, 0
	s_cselect_b64 s[20:21], -1, 0
	v_and_b32_e32 v0, 15, v0
	s_and_b64 s[24:25], vcc, s[4:5]
	s_mul_i32 s4, s14, s13
	v_add_u32_e32 v9, s4, v13
	v_mul_lo_u32 v18, s15, v9
	v_cndmask_b32_e64 v9, 0, 1, s[26:27]
	v_cmp_gt_i32_e64 s[0:1], s15, v0
	v_cmp_eq_u32_e64 s[2:3], 15, v0
	s_mov_b64 s[22:23], 0
	s_mul_i32 s34, s14, s6
	s_lshl_b32 s35, s15, 4
	s_mul_i32 s36, s15, s14
	v_cmp_ne_u32_e64 s[4:5], 1, v9
	s_branch .LBB110_6
.LBB110_5:                              ;   in Loop: Header=BB110_6 Depth=1
	s_or_b64 exec, exec, s[6:7]
	v_add_u32_e32 v13, 16, v13
	v_cmp_le_i32_e32 vcc, s14, v13
	s_or_b64 s[22:23], vcc, s[22:23]
	v_add_u32_e32 v18, s35, v18
	s_andn2_b64 exec, exec, s[22:23]
	s_cbranch_execz .LBB110_22
.LBB110_6:                              ; =>This Loop Header: Depth=1
                                        ;     Child Loop BB110_10 Depth 2
                                        ;       Child Loop BB110_13 Depth 3
	v_mov_b32_e32 v9, 0
	v_mov_b32_e32 v11, 0
	;; [unrolled: 1-line block ×3, first 2 shown]
	s_and_b64 vcc, exec, s[4:5]
	v_mov_b32_e32 v12, 0
	s_cbranch_vccnz .LBB110_17
; %bb.7:                                ;   in Loop: Header=BB110_6 Depth=1
	v_mov_b32_e32 v9, 0
	v_mov_b32_e32 v11, 0
	;; [unrolled: 1-line block ×5, first 2 shown]
	s_mov_b32 s6, s13
	s_branch .LBB110_10
.LBB110_8:                              ;   in Loop: Header=BB110_10 Depth=2
	s_or_b64 exec, exec, s[28:29]
.LBB110_9:                              ;   in Loop: Header=BB110_10 Depth=2
	s_or_b64 exec, exec, s[26:27]
	s_add_i32 s6, s6, 1
	s_cmp_ge_i32 s6, s33
	v_add_u32_e32 v16, s36, v16
	s_cbranch_scc1 .LBB110_17
.LBB110_10:                             ;   Parent Loop BB110_6 Depth=1
                                        ; =>  This Loop Header: Depth=2
                                        ;       Child Loop BB110_13 Depth 3
	s_and_saveexec_b64 s[26:27], s[0:1]
	s_cbranch_execz .LBB110_9
; %bb.11:                               ;   in Loop: Header=BB110_10 Depth=2
	s_ashr_i32 s7, s6, 31
	s_lshl_b64 s[28:29], s[6:7], 2
	s_add_u32 s28, s10, s28
	s_addc_u32 s29, s11, s29
	s_load_dword s30, s[28:29], 0x0
	s_mul_i32 s7, s6, s15
	s_mov_b64 s[28:29], 0
	v_mov_b32_e32 v17, v0
	s_waitcnt lgkmcnt(0)
	s_sub_i32 s37, s30, s12
	s_mul_i32 s37, s37, s15
	s_branch .LBB110_13
.LBB110_12:                             ;   in Loop: Header=BB110_13 Depth=3
	v_ashrrev_i32_e32 v15, 31, v14
	v_lshlrev_b64 v[14:15], 4, v[14:15]
	v_mov_b32_e32 v19, s17
	v_add_co_u32_e32 v14, vcc, s16, v14
	v_addc_co_u32_e32 v15, vcc, v19, v15, vcc
	global_load_dwordx4 v[19:22], v[14:15], off
	v_add_u32_e32 v14, s37, v17
	v_ashrrev_i32_e32 v15, 31, v14
	v_lshlrev_b64 v[14:15], 4, v[14:15]
	v_mov_b32_e32 v23, s19
	v_add_co_u32_e32 v14, vcc, s18, v14
	v_addc_co_u32_e32 v15, vcc, v23, v15, vcc
	global_load_dwordx4 v[23:26], v[14:15], off
	v_add_u32_e32 v17, 16, v17
	v_cmp_le_i32_e32 vcc, s15, v17
	s_or_b64 s[28:29], vcc, s[28:29]
	s_waitcnt vmcnt(0)
	v_fma_f64 v[11:12], v[19:20], v[23:24], v[11:12]
	v_fma_f64 v[9:10], v[21:22], v[23:24], v[9:10]
	v_fma_f64 v[11:12], -v[21:22], v[25:26], v[11:12]
	v_fma_f64 v[9:10], v[19:20], v[25:26], v[9:10]
	s_andn2_b64 exec, exec, s[28:29]
	s_cbranch_execz .LBB110_8
.LBB110_13:                             ;   Parent Loop BB110_6 Depth=1
                                        ;     Parent Loop BB110_10 Depth=2
                                        ; =>    This Inner Loop Header: Depth=3
	s_and_b64 vcc, exec, s[20:21]
	s_cbranch_vccz .LBB110_15
; %bb.14:                               ;   in Loop: Header=BB110_13 Depth=3
	v_add_u32_e32 v14, s7, v17
	v_mad_u64_u32 v[14:15], s[30:31], v14, s14, v[13:14]
	s_cbranch_execnz .LBB110_12
	s_branch .LBB110_16
.LBB110_15:                             ;   in Loop: Header=BB110_13 Depth=3
                                        ; implicit-def: $vgpr14
.LBB110_16:                             ;   in Loop: Header=BB110_13 Depth=3
	v_add_u32_e32 v14, v16, v17
	s_branch .LBB110_12
.LBB110_17:                             ;   in Loop: Header=BB110_6 Depth=1
	s_nop 0
	v_mov_b32_dpp v14, v11 row_shr:1 row_mask:0xf bank_mask:0xf
	v_mov_b32_dpp v15, v12 row_shr:1 row_mask:0xf bank_mask:0xf
	v_add_f64 v[11:12], v[11:12], v[14:15]
	v_mov_b32_dpp v14, v9 row_shr:1 row_mask:0xf bank_mask:0xf
	v_mov_b32_dpp v15, v10 row_shr:1 row_mask:0xf bank_mask:0xf
	v_add_f64 v[9:10], v[9:10], v[14:15]
	;; [unrolled: 3-line block ×6, first 2 shown]
	v_mov_b32_dpp v14, v9 row_shr:8 row_mask:0xf bank_mask:0xc
	v_mov_b32_dpp v15, v10 row_shr:8 row_mask:0xf bank_mask:0xc
	;; [unrolled: 1-line block ×4, first 2 shown]
	s_and_saveexec_b64 s[6:7], s[2:3]
	s_cbranch_execz .LBB110_5
; %bb.18:                               ;   in Loop: Header=BB110_6 Depth=1
	v_add_f64 v[11:12], v[11:12], v[16:17]
	v_add_f64 v[14:15], v[9:10], v[14:15]
	v_mul_f64 v[9:10], v[11:12], -v[3:4]
	v_mul_f64 v[11:12], v[1:2], v[11:12]
	v_fma_f64 v[9:10], v[1:2], v[14:15], v[9:10]
	v_fma_f64 v[11:12], v[3:4], v[14:15], v[11:12]
	v_add_u32_e32 v14, s34, v13
	v_ashrrev_i32_e32 v15, 31, v14
	s_and_saveexec_b64 s[26:27], s[24:25]
	s_xor_b64 s[26:27], exec, s[26:27]
	s_cbranch_execz .LBB110_20
; %bb.19:                               ;   in Loop: Header=BB110_6 Depth=1
	v_lshlrev_b64 v[14:15], 4, v[14:15]
	v_mov_b32_e32 v16, s9
	v_add_co_u32_e32 v14, vcc, s8, v14
	v_addc_co_u32_e32 v15, vcc, v16, v15, vcc
	global_store_dwordx4 v[14:15], v[9:12], off
                                        ; implicit-def: $vgpr14
                                        ; implicit-def: $vgpr9_vgpr10
.LBB110_20:                             ;   in Loop: Header=BB110_6 Depth=1
	s_andn2_saveexec_b64 s[26:27], s[26:27]
	s_cbranch_execz .LBB110_5
; %bb.21:                               ;   in Loop: Header=BB110_6 Depth=1
	v_lshlrev_b64 v[14:15], 4, v[14:15]
	v_mov_b32_e32 v16, s9
	v_add_co_u32_e32 v19, vcc, s8, v14
	v_addc_co_u32_e32 v20, vcc, v16, v15, vcc
	global_load_dwordx4 v[14:17], v[19:20], off
	s_waitcnt vmcnt(0)
	v_fma_f64 v[9:10], v[5:6], v[14:15], v[9:10]
	v_fma_f64 v[11:12], v[7:8], v[14:15], v[11:12]
	v_fma_f64 v[9:10], -v[7:8], v[16:17], v[9:10]
	v_fma_f64 v[11:12], v[5:6], v[16:17], v[11:12]
	global_store_dwordx4 v[19:20], v[9:12], off
	s_branch .LBB110_5
.LBB110_22:
	s_endpgm
	.section	.rodata,"a",@progbits
	.p2align	6, 0x0
	.amdhsa_kernel _ZN9rocsparseL23gebsrmvn_general_kernelILj256ELj16E21rocsparse_complex_numIdEEEvi20rocsparse_direction_NS_24const_host_device_scalarIT1_EEPKiS8_PKS5_iiSA_S6_PS5_21rocsparse_index_base_b
		.amdhsa_group_segment_fixed_size 0
		.amdhsa_private_segment_fixed_size 0
		.amdhsa_kernarg_size 96
		.amdhsa_user_sgpr_count 6
		.amdhsa_user_sgpr_private_segment_buffer 1
		.amdhsa_user_sgpr_dispatch_ptr 0
		.amdhsa_user_sgpr_queue_ptr 0
		.amdhsa_user_sgpr_kernarg_segment_ptr 1
		.amdhsa_user_sgpr_dispatch_id 0
		.amdhsa_user_sgpr_flat_scratch_init 0
		.amdhsa_user_sgpr_private_segment_size 0
		.amdhsa_uses_dynamic_stack 0
		.amdhsa_system_sgpr_private_segment_wavefront_offset 0
		.amdhsa_system_sgpr_workgroup_id_x 1
		.amdhsa_system_sgpr_workgroup_id_y 0
		.amdhsa_system_sgpr_workgroup_id_z 0
		.amdhsa_system_sgpr_workgroup_info 0
		.amdhsa_system_vgpr_workitem_id 0
		.amdhsa_next_free_vgpr 27
		.amdhsa_next_free_sgpr 38
		.amdhsa_reserve_vcc 1
		.amdhsa_reserve_flat_scratch 0
		.amdhsa_float_round_mode_32 0
		.amdhsa_float_round_mode_16_64 0
		.amdhsa_float_denorm_mode_32 3
		.amdhsa_float_denorm_mode_16_64 3
		.amdhsa_dx10_clamp 1
		.amdhsa_ieee_mode 1
		.amdhsa_fp16_overflow 0
		.amdhsa_exception_fp_ieee_invalid_op 0
		.amdhsa_exception_fp_denorm_src 0
		.amdhsa_exception_fp_ieee_div_zero 0
		.amdhsa_exception_fp_ieee_overflow 0
		.amdhsa_exception_fp_ieee_underflow 0
		.amdhsa_exception_fp_ieee_inexact 0
		.amdhsa_exception_int_div_zero 0
	.end_amdhsa_kernel
	.section	.text._ZN9rocsparseL23gebsrmvn_general_kernelILj256ELj16E21rocsparse_complex_numIdEEEvi20rocsparse_direction_NS_24const_host_device_scalarIT1_EEPKiS8_PKS5_iiSA_S6_PS5_21rocsparse_index_base_b,"axG",@progbits,_ZN9rocsparseL23gebsrmvn_general_kernelILj256ELj16E21rocsparse_complex_numIdEEEvi20rocsparse_direction_NS_24const_host_device_scalarIT1_EEPKiS8_PKS5_iiSA_S6_PS5_21rocsparse_index_base_b,comdat
.Lfunc_end110:
	.size	_ZN9rocsparseL23gebsrmvn_general_kernelILj256ELj16E21rocsparse_complex_numIdEEEvi20rocsparse_direction_NS_24const_host_device_scalarIT1_EEPKiS8_PKS5_iiSA_S6_PS5_21rocsparse_index_base_b, .Lfunc_end110-_ZN9rocsparseL23gebsrmvn_general_kernelILj256ELj16E21rocsparse_complex_numIdEEEvi20rocsparse_direction_NS_24const_host_device_scalarIT1_EEPKiS8_PKS5_iiSA_S6_PS5_21rocsparse_index_base_b
                                        ; -- End function
	.set _ZN9rocsparseL23gebsrmvn_general_kernelILj256ELj16E21rocsparse_complex_numIdEEEvi20rocsparse_direction_NS_24const_host_device_scalarIT1_EEPKiS8_PKS5_iiSA_S6_PS5_21rocsparse_index_base_b.num_vgpr, 27
	.set _ZN9rocsparseL23gebsrmvn_general_kernelILj256ELj16E21rocsparse_complex_numIdEEEvi20rocsparse_direction_NS_24const_host_device_scalarIT1_EEPKiS8_PKS5_iiSA_S6_PS5_21rocsparse_index_base_b.num_agpr, 0
	.set _ZN9rocsparseL23gebsrmvn_general_kernelILj256ELj16E21rocsparse_complex_numIdEEEvi20rocsparse_direction_NS_24const_host_device_scalarIT1_EEPKiS8_PKS5_iiSA_S6_PS5_21rocsparse_index_base_b.numbered_sgpr, 38
	.set _ZN9rocsparseL23gebsrmvn_general_kernelILj256ELj16E21rocsparse_complex_numIdEEEvi20rocsparse_direction_NS_24const_host_device_scalarIT1_EEPKiS8_PKS5_iiSA_S6_PS5_21rocsparse_index_base_b.num_named_barrier, 0
	.set _ZN9rocsparseL23gebsrmvn_general_kernelILj256ELj16E21rocsparse_complex_numIdEEEvi20rocsparse_direction_NS_24const_host_device_scalarIT1_EEPKiS8_PKS5_iiSA_S6_PS5_21rocsparse_index_base_b.private_seg_size, 0
	.set _ZN9rocsparseL23gebsrmvn_general_kernelILj256ELj16E21rocsparse_complex_numIdEEEvi20rocsparse_direction_NS_24const_host_device_scalarIT1_EEPKiS8_PKS5_iiSA_S6_PS5_21rocsparse_index_base_b.uses_vcc, 1
	.set _ZN9rocsparseL23gebsrmvn_general_kernelILj256ELj16E21rocsparse_complex_numIdEEEvi20rocsparse_direction_NS_24const_host_device_scalarIT1_EEPKiS8_PKS5_iiSA_S6_PS5_21rocsparse_index_base_b.uses_flat_scratch, 0
	.set _ZN9rocsparseL23gebsrmvn_general_kernelILj256ELj16E21rocsparse_complex_numIdEEEvi20rocsparse_direction_NS_24const_host_device_scalarIT1_EEPKiS8_PKS5_iiSA_S6_PS5_21rocsparse_index_base_b.has_dyn_sized_stack, 0
	.set _ZN9rocsparseL23gebsrmvn_general_kernelILj256ELj16E21rocsparse_complex_numIdEEEvi20rocsparse_direction_NS_24const_host_device_scalarIT1_EEPKiS8_PKS5_iiSA_S6_PS5_21rocsparse_index_base_b.has_recursion, 0
	.set _ZN9rocsparseL23gebsrmvn_general_kernelILj256ELj16E21rocsparse_complex_numIdEEEvi20rocsparse_direction_NS_24const_host_device_scalarIT1_EEPKiS8_PKS5_iiSA_S6_PS5_21rocsparse_index_base_b.has_indirect_call, 0
	.section	.AMDGPU.csdata,"",@progbits
; Kernel info:
; codeLenInByte = 1068
; TotalNumSgprs: 42
; NumVgprs: 27
; ScratchSize: 0
; MemoryBound: 0
; FloatMode: 240
; IeeeMode: 1
; LDSByteSize: 0 bytes/workgroup (compile time only)
; SGPRBlocks: 5
; VGPRBlocks: 6
; NumSGPRsForWavesPerEU: 42
; NumVGPRsForWavesPerEU: 27
; Occupancy: 9
; WaveLimiterHint : 1
; COMPUTE_PGM_RSRC2:SCRATCH_EN: 0
; COMPUTE_PGM_RSRC2:USER_SGPR: 6
; COMPUTE_PGM_RSRC2:TRAP_HANDLER: 0
; COMPUTE_PGM_RSRC2:TGID_X_EN: 1
; COMPUTE_PGM_RSRC2:TGID_Y_EN: 0
; COMPUTE_PGM_RSRC2:TGID_Z_EN: 0
; COMPUTE_PGM_RSRC2:TIDIG_COMP_CNT: 0
	.section	.text._ZN9rocsparseL23gebsrmvn_general_kernelILj512ELj32E21rocsparse_complex_numIdEEEvi20rocsparse_direction_NS_24const_host_device_scalarIT1_EEPKiS8_PKS5_iiSA_S6_PS5_21rocsparse_index_base_b,"axG",@progbits,_ZN9rocsparseL23gebsrmvn_general_kernelILj512ELj32E21rocsparse_complex_numIdEEEvi20rocsparse_direction_NS_24const_host_device_scalarIT1_EEPKiS8_PKS5_iiSA_S6_PS5_21rocsparse_index_base_b,comdat
	.globl	_ZN9rocsparseL23gebsrmvn_general_kernelILj512ELj32E21rocsparse_complex_numIdEEEvi20rocsparse_direction_NS_24const_host_device_scalarIT1_EEPKiS8_PKS5_iiSA_S6_PS5_21rocsparse_index_base_b ; -- Begin function _ZN9rocsparseL23gebsrmvn_general_kernelILj512ELj32E21rocsparse_complex_numIdEEEvi20rocsparse_direction_NS_24const_host_device_scalarIT1_EEPKiS8_PKS5_iiSA_S6_PS5_21rocsparse_index_base_b
	.p2align	8
	.type	_ZN9rocsparseL23gebsrmvn_general_kernelILj512ELj32E21rocsparse_complex_numIdEEEvi20rocsparse_direction_NS_24const_host_device_scalarIT1_EEPKiS8_PKS5_iiSA_S6_PS5_21rocsparse_index_base_b,@function
_ZN9rocsparseL23gebsrmvn_general_kernelILj512ELj32E21rocsparse_complex_numIdEEEvi20rocsparse_direction_NS_24const_host_device_scalarIT1_EEPKiS8_PKS5_iiSA_S6_PS5_21rocsparse_index_base_b: ; @_ZN9rocsparseL23gebsrmvn_general_kernelILj512ELj32E21rocsparse_complex_numIdEEEvi20rocsparse_direction_NS_24const_host_device_scalarIT1_EEPKiS8_PKS5_iiSA_S6_PS5_21rocsparse_index_base_b
; %bb.0:
	s_load_dwordx2 s[0:1], s[4:5], 0x8
	s_load_dwordx2 s[2:3], s[4:5], 0x40
	;; [unrolled: 1-line block ×3, first 2 shown]
	s_add_u32 s7, s4, 8
	s_addc_u32 s8, s5, 0
	s_add_u32 s9, s4, 64
	s_addc_u32 s10, s5, 0
	s_waitcnt lgkmcnt(0)
	s_bitcmp1_b32 s13, 0
	s_cselect_b32 s1, s8, s1
	s_cselect_b32 s0, s7, s0
	v_mov_b32_e32 v1, s0
	v_mov_b32_e32 v2, s1
	flat_load_dwordx4 v[1:4], v[1:2]
	s_cselect_b32 s0, s10, s3
	s_cselect_b32 s1, s9, s2
	v_mov_b32_e32 v5, s1
	v_mov_b32_e32 v6, s0
	flat_load_dwordx4 v[5:8], v[5:6]
	s_waitcnt vmcnt(0) lgkmcnt(0)
	v_cmp_eq_f64_e32 vcc, 0, v[1:2]
	v_cmp_eq_f64_e64 s[0:1], 0, v[3:4]
	s_and_b64 s[8:9], vcc, s[0:1]
	s_mov_b64 s[0:1], -1
	s_and_saveexec_b64 s[2:3], s[8:9]
	s_cbranch_execz .LBB111_2
; %bb.1:
	v_cmp_neq_f64_e32 vcc, 1.0, v[5:6]
	v_cmp_neq_f64_e64 s[0:1], 0, v[7:8]
	s_or_b64 s[0:1], vcc, s[0:1]
	s_orn2_b64 s[0:1], s[0:1], exec
.LBB111_2:
	s_or_b64 exec, exec, s[2:3]
	s_and_saveexec_b64 s[2:3], s[0:1]
	s_cbranch_execz .LBB111_22
; %bb.3:
	s_load_dwordx2 s[14:15], s[4:5], 0x30
	v_lshrrev_b32_e32 v13, 5, v0
	s_waitcnt lgkmcnt(0)
	v_cmp_gt_i32_e32 vcc, s14, v13
	s_and_b64 exec, exec, vcc
	s_cbranch_execz .LBB111_22
; %bb.4:
	s_load_dwordx4 s[8:11], s[4:5], 0x18
	s_load_dword s20, s[4:5], 0x4
	s_ashr_i32 s7, s6, 31
	s_lshl_b64 s[0:1], s[6:7], 2
	v_cmp_eq_f64_e32 vcc, 0, v[5:6]
	s_waitcnt lgkmcnt(0)
	s_add_u32 s0, s8, s0
	s_addc_u32 s1, s9, s1
	s_load_dwordx2 s[2:3], s[0:1], 0x0
	s_load_dwordx2 s[8:9], s[4:5], 0x50
	;; [unrolled: 1-line block ×4, first 2 shown]
	v_cmp_eq_f64_e64 s[4:5], 0, v[7:8]
	s_waitcnt lgkmcnt(0)
	s_sub_i32 s13, s2, s12
	s_sub_i32 s33, s3, s12
	s_cmp_lt_i32 s2, s3
	s_cselect_b64 s[26:27], -1, 0
	s_cmp_lg_u32 s20, 0
	s_cselect_b64 s[20:21], -1, 0
	v_and_b32_e32 v0, 31, v0
	s_and_b64 s[24:25], vcc, s[4:5]
	s_mul_i32 s4, s14, s13
	v_add_u32_e32 v9, s4, v13
	v_mul_lo_u32 v18, s15, v9
	v_cndmask_b32_e64 v9, 0, 1, s[26:27]
	v_cmp_gt_i32_e64 s[0:1], s15, v0
	v_cmp_eq_u32_e64 s[2:3], 31, v0
	s_mov_b64 s[22:23], 0
	s_mul_i32 s34, s14, s6
	s_lshl_b32 s35, s15, 4
	s_mul_i32 s36, s15, s14
	v_cmp_ne_u32_e64 s[4:5], 1, v9
	s_branch .LBB111_6
.LBB111_5:                              ;   in Loop: Header=BB111_6 Depth=1
	s_or_b64 exec, exec, s[6:7]
	v_add_u32_e32 v13, 16, v13
	v_cmp_le_i32_e32 vcc, s14, v13
	s_or_b64 s[22:23], vcc, s[22:23]
	v_add_u32_e32 v18, s35, v18
	s_andn2_b64 exec, exec, s[22:23]
	s_cbranch_execz .LBB111_22
.LBB111_6:                              ; =>This Loop Header: Depth=1
                                        ;     Child Loop BB111_10 Depth 2
                                        ;       Child Loop BB111_13 Depth 3
	v_mov_b32_e32 v9, 0
	v_mov_b32_e32 v11, 0
	;; [unrolled: 1-line block ×3, first 2 shown]
	s_and_b64 vcc, exec, s[4:5]
	v_mov_b32_e32 v12, 0
	s_cbranch_vccnz .LBB111_17
; %bb.7:                                ;   in Loop: Header=BB111_6 Depth=1
	v_mov_b32_e32 v9, 0
	v_mov_b32_e32 v11, 0
	;; [unrolled: 1-line block ×5, first 2 shown]
	s_mov_b32 s6, s13
	s_branch .LBB111_10
.LBB111_8:                              ;   in Loop: Header=BB111_10 Depth=2
	s_or_b64 exec, exec, s[28:29]
.LBB111_9:                              ;   in Loop: Header=BB111_10 Depth=2
	s_or_b64 exec, exec, s[26:27]
	s_add_i32 s6, s6, 1
	s_cmp_ge_i32 s6, s33
	v_add_u32_e32 v16, s36, v16
	s_cbranch_scc1 .LBB111_17
.LBB111_10:                             ;   Parent Loop BB111_6 Depth=1
                                        ; =>  This Loop Header: Depth=2
                                        ;       Child Loop BB111_13 Depth 3
	s_and_saveexec_b64 s[26:27], s[0:1]
	s_cbranch_execz .LBB111_9
; %bb.11:                               ;   in Loop: Header=BB111_10 Depth=2
	s_ashr_i32 s7, s6, 31
	s_lshl_b64 s[28:29], s[6:7], 2
	s_add_u32 s28, s10, s28
	s_addc_u32 s29, s11, s29
	s_load_dword s30, s[28:29], 0x0
	s_mul_i32 s7, s6, s15
	s_mov_b64 s[28:29], 0
	v_mov_b32_e32 v17, v0
	s_waitcnt lgkmcnt(0)
	s_sub_i32 s37, s30, s12
	s_mul_i32 s37, s37, s15
	s_branch .LBB111_13
.LBB111_12:                             ;   in Loop: Header=BB111_13 Depth=3
	v_ashrrev_i32_e32 v15, 31, v14
	v_lshlrev_b64 v[14:15], 4, v[14:15]
	v_mov_b32_e32 v19, s17
	v_add_co_u32_e32 v14, vcc, s16, v14
	v_addc_co_u32_e32 v15, vcc, v19, v15, vcc
	global_load_dwordx4 v[19:22], v[14:15], off
	v_add_u32_e32 v14, s37, v17
	v_ashrrev_i32_e32 v15, 31, v14
	v_lshlrev_b64 v[14:15], 4, v[14:15]
	v_mov_b32_e32 v23, s19
	v_add_co_u32_e32 v14, vcc, s18, v14
	v_addc_co_u32_e32 v15, vcc, v23, v15, vcc
	global_load_dwordx4 v[23:26], v[14:15], off
	v_add_u32_e32 v17, 32, v17
	v_cmp_le_i32_e32 vcc, s15, v17
	s_or_b64 s[28:29], vcc, s[28:29]
	s_waitcnt vmcnt(0)
	v_fma_f64 v[11:12], v[19:20], v[23:24], v[11:12]
	v_fma_f64 v[9:10], v[21:22], v[23:24], v[9:10]
	v_fma_f64 v[11:12], -v[21:22], v[25:26], v[11:12]
	v_fma_f64 v[9:10], v[19:20], v[25:26], v[9:10]
	s_andn2_b64 exec, exec, s[28:29]
	s_cbranch_execz .LBB111_8
.LBB111_13:                             ;   Parent Loop BB111_6 Depth=1
                                        ;     Parent Loop BB111_10 Depth=2
                                        ; =>    This Inner Loop Header: Depth=3
	s_and_b64 vcc, exec, s[20:21]
	s_cbranch_vccz .LBB111_15
; %bb.14:                               ;   in Loop: Header=BB111_13 Depth=3
	v_add_u32_e32 v14, s7, v17
	v_mad_u64_u32 v[14:15], s[30:31], v14, s14, v[13:14]
	s_cbranch_execnz .LBB111_12
	s_branch .LBB111_16
.LBB111_15:                             ;   in Loop: Header=BB111_13 Depth=3
                                        ; implicit-def: $vgpr14
.LBB111_16:                             ;   in Loop: Header=BB111_13 Depth=3
	v_add_u32_e32 v14, v16, v17
	s_branch .LBB111_12
.LBB111_17:                             ;   in Loop: Header=BB111_6 Depth=1
	s_nop 0
	v_mov_b32_dpp v14, v11 row_shr:1 row_mask:0xf bank_mask:0xf
	v_mov_b32_dpp v15, v12 row_shr:1 row_mask:0xf bank_mask:0xf
	v_add_f64 v[11:12], v[11:12], v[14:15]
	v_mov_b32_dpp v14, v9 row_shr:1 row_mask:0xf bank_mask:0xf
	v_mov_b32_dpp v15, v10 row_shr:1 row_mask:0xf bank_mask:0xf
	v_add_f64 v[9:10], v[9:10], v[14:15]
	;; [unrolled: 3-line block ×8, first 2 shown]
	v_mov_b32_dpp v14, v9 row_bcast:15 row_mask:0xa bank_mask:0xf
	v_mov_b32_dpp v15, v10 row_bcast:15 row_mask:0xa bank_mask:0xf
	;; [unrolled: 1-line block ×4, first 2 shown]
	s_and_saveexec_b64 s[6:7], s[2:3]
	s_cbranch_execz .LBB111_5
; %bb.18:                               ;   in Loop: Header=BB111_6 Depth=1
	v_add_f64 v[11:12], v[11:12], v[16:17]
	v_add_f64 v[14:15], v[9:10], v[14:15]
	v_mul_f64 v[9:10], v[11:12], -v[3:4]
	v_mul_f64 v[11:12], v[1:2], v[11:12]
	v_fma_f64 v[9:10], v[1:2], v[14:15], v[9:10]
	v_fma_f64 v[11:12], v[3:4], v[14:15], v[11:12]
	v_add_u32_e32 v14, s34, v13
	v_ashrrev_i32_e32 v15, 31, v14
	s_and_saveexec_b64 s[26:27], s[24:25]
	s_xor_b64 s[26:27], exec, s[26:27]
	s_cbranch_execz .LBB111_20
; %bb.19:                               ;   in Loop: Header=BB111_6 Depth=1
	v_lshlrev_b64 v[14:15], 4, v[14:15]
	v_mov_b32_e32 v16, s9
	v_add_co_u32_e32 v14, vcc, s8, v14
	v_addc_co_u32_e32 v15, vcc, v16, v15, vcc
	global_store_dwordx4 v[14:15], v[9:12], off
                                        ; implicit-def: $vgpr14
                                        ; implicit-def: $vgpr9_vgpr10
.LBB111_20:                             ;   in Loop: Header=BB111_6 Depth=1
	s_andn2_saveexec_b64 s[26:27], s[26:27]
	s_cbranch_execz .LBB111_5
; %bb.21:                               ;   in Loop: Header=BB111_6 Depth=1
	v_lshlrev_b64 v[14:15], 4, v[14:15]
	v_mov_b32_e32 v16, s9
	v_add_co_u32_e32 v19, vcc, s8, v14
	v_addc_co_u32_e32 v20, vcc, v16, v15, vcc
	global_load_dwordx4 v[14:17], v[19:20], off
	s_waitcnt vmcnt(0)
	v_fma_f64 v[9:10], v[5:6], v[14:15], v[9:10]
	v_fma_f64 v[11:12], v[7:8], v[14:15], v[11:12]
	v_fma_f64 v[9:10], -v[7:8], v[16:17], v[9:10]
	v_fma_f64 v[11:12], v[5:6], v[16:17], v[11:12]
	global_store_dwordx4 v[19:20], v[9:12], off
	s_branch .LBB111_5
.LBB111_22:
	s_endpgm
	.section	.rodata,"a",@progbits
	.p2align	6, 0x0
	.amdhsa_kernel _ZN9rocsparseL23gebsrmvn_general_kernelILj512ELj32E21rocsparse_complex_numIdEEEvi20rocsparse_direction_NS_24const_host_device_scalarIT1_EEPKiS8_PKS5_iiSA_S6_PS5_21rocsparse_index_base_b
		.amdhsa_group_segment_fixed_size 0
		.amdhsa_private_segment_fixed_size 0
		.amdhsa_kernarg_size 96
		.amdhsa_user_sgpr_count 6
		.amdhsa_user_sgpr_private_segment_buffer 1
		.amdhsa_user_sgpr_dispatch_ptr 0
		.amdhsa_user_sgpr_queue_ptr 0
		.amdhsa_user_sgpr_kernarg_segment_ptr 1
		.amdhsa_user_sgpr_dispatch_id 0
		.amdhsa_user_sgpr_flat_scratch_init 0
		.amdhsa_user_sgpr_private_segment_size 0
		.amdhsa_uses_dynamic_stack 0
		.amdhsa_system_sgpr_private_segment_wavefront_offset 0
		.amdhsa_system_sgpr_workgroup_id_x 1
		.amdhsa_system_sgpr_workgroup_id_y 0
		.amdhsa_system_sgpr_workgroup_id_z 0
		.amdhsa_system_sgpr_workgroup_info 0
		.amdhsa_system_vgpr_workitem_id 0
		.amdhsa_next_free_vgpr 27
		.amdhsa_next_free_sgpr 38
		.amdhsa_reserve_vcc 1
		.amdhsa_reserve_flat_scratch 0
		.amdhsa_float_round_mode_32 0
		.amdhsa_float_round_mode_16_64 0
		.amdhsa_float_denorm_mode_32 3
		.amdhsa_float_denorm_mode_16_64 3
		.amdhsa_dx10_clamp 1
		.amdhsa_ieee_mode 1
		.amdhsa_fp16_overflow 0
		.amdhsa_exception_fp_ieee_invalid_op 0
		.amdhsa_exception_fp_denorm_src 0
		.amdhsa_exception_fp_ieee_div_zero 0
		.amdhsa_exception_fp_ieee_overflow 0
		.amdhsa_exception_fp_ieee_underflow 0
		.amdhsa_exception_fp_ieee_inexact 0
		.amdhsa_exception_int_div_zero 0
	.end_amdhsa_kernel
	.section	.text._ZN9rocsparseL23gebsrmvn_general_kernelILj512ELj32E21rocsparse_complex_numIdEEEvi20rocsparse_direction_NS_24const_host_device_scalarIT1_EEPKiS8_PKS5_iiSA_S6_PS5_21rocsparse_index_base_b,"axG",@progbits,_ZN9rocsparseL23gebsrmvn_general_kernelILj512ELj32E21rocsparse_complex_numIdEEEvi20rocsparse_direction_NS_24const_host_device_scalarIT1_EEPKiS8_PKS5_iiSA_S6_PS5_21rocsparse_index_base_b,comdat
.Lfunc_end111:
	.size	_ZN9rocsparseL23gebsrmvn_general_kernelILj512ELj32E21rocsparse_complex_numIdEEEvi20rocsparse_direction_NS_24const_host_device_scalarIT1_EEPKiS8_PKS5_iiSA_S6_PS5_21rocsparse_index_base_b, .Lfunc_end111-_ZN9rocsparseL23gebsrmvn_general_kernelILj512ELj32E21rocsparse_complex_numIdEEEvi20rocsparse_direction_NS_24const_host_device_scalarIT1_EEPKiS8_PKS5_iiSA_S6_PS5_21rocsparse_index_base_b
                                        ; -- End function
	.set _ZN9rocsparseL23gebsrmvn_general_kernelILj512ELj32E21rocsparse_complex_numIdEEEvi20rocsparse_direction_NS_24const_host_device_scalarIT1_EEPKiS8_PKS5_iiSA_S6_PS5_21rocsparse_index_base_b.num_vgpr, 27
	.set _ZN9rocsparseL23gebsrmvn_general_kernelILj512ELj32E21rocsparse_complex_numIdEEEvi20rocsparse_direction_NS_24const_host_device_scalarIT1_EEPKiS8_PKS5_iiSA_S6_PS5_21rocsparse_index_base_b.num_agpr, 0
	.set _ZN9rocsparseL23gebsrmvn_general_kernelILj512ELj32E21rocsparse_complex_numIdEEEvi20rocsparse_direction_NS_24const_host_device_scalarIT1_EEPKiS8_PKS5_iiSA_S6_PS5_21rocsparse_index_base_b.numbered_sgpr, 38
	.set _ZN9rocsparseL23gebsrmvn_general_kernelILj512ELj32E21rocsparse_complex_numIdEEEvi20rocsparse_direction_NS_24const_host_device_scalarIT1_EEPKiS8_PKS5_iiSA_S6_PS5_21rocsparse_index_base_b.num_named_barrier, 0
	.set _ZN9rocsparseL23gebsrmvn_general_kernelILj512ELj32E21rocsparse_complex_numIdEEEvi20rocsparse_direction_NS_24const_host_device_scalarIT1_EEPKiS8_PKS5_iiSA_S6_PS5_21rocsparse_index_base_b.private_seg_size, 0
	.set _ZN9rocsparseL23gebsrmvn_general_kernelILj512ELj32E21rocsparse_complex_numIdEEEvi20rocsparse_direction_NS_24const_host_device_scalarIT1_EEPKiS8_PKS5_iiSA_S6_PS5_21rocsparse_index_base_b.uses_vcc, 1
	.set _ZN9rocsparseL23gebsrmvn_general_kernelILj512ELj32E21rocsparse_complex_numIdEEEvi20rocsparse_direction_NS_24const_host_device_scalarIT1_EEPKiS8_PKS5_iiSA_S6_PS5_21rocsparse_index_base_b.uses_flat_scratch, 0
	.set _ZN9rocsparseL23gebsrmvn_general_kernelILj512ELj32E21rocsparse_complex_numIdEEEvi20rocsparse_direction_NS_24const_host_device_scalarIT1_EEPKiS8_PKS5_iiSA_S6_PS5_21rocsparse_index_base_b.has_dyn_sized_stack, 0
	.set _ZN9rocsparseL23gebsrmvn_general_kernelILj512ELj32E21rocsparse_complex_numIdEEEvi20rocsparse_direction_NS_24const_host_device_scalarIT1_EEPKiS8_PKS5_iiSA_S6_PS5_21rocsparse_index_base_b.has_recursion, 0
	.set _ZN9rocsparseL23gebsrmvn_general_kernelILj512ELj32E21rocsparse_complex_numIdEEEvi20rocsparse_direction_NS_24const_host_device_scalarIT1_EEPKiS8_PKS5_iiSA_S6_PS5_21rocsparse_index_base_b.has_indirect_call, 0
	.section	.AMDGPU.csdata,"",@progbits
; Kernel info:
; codeLenInByte = 1116
; TotalNumSgprs: 42
; NumVgprs: 27
; ScratchSize: 0
; MemoryBound: 0
; FloatMode: 240
; IeeeMode: 1
; LDSByteSize: 0 bytes/workgroup (compile time only)
; SGPRBlocks: 5
; VGPRBlocks: 6
; NumSGPRsForWavesPerEU: 42
; NumVGPRsForWavesPerEU: 27
; Occupancy: 9
; WaveLimiterHint : 1
; COMPUTE_PGM_RSRC2:SCRATCH_EN: 0
; COMPUTE_PGM_RSRC2:USER_SGPR: 6
; COMPUTE_PGM_RSRC2:TRAP_HANDLER: 0
; COMPUTE_PGM_RSRC2:TGID_X_EN: 1
; COMPUTE_PGM_RSRC2:TGID_Y_EN: 0
; COMPUTE_PGM_RSRC2:TGID_Z_EN: 0
; COMPUTE_PGM_RSRC2:TIDIG_COMP_CNT: 0
	.section	.text._ZN9rocsparseL22gebsrmvn_mxn_16_kernelILj60ELj10ELj1E21rocsparse_complex_numIdEEEvi20rocsparse_direction_NS_24const_host_device_scalarIT2_EEPKiS8_PKS5_iiSA_S6_PS5_21rocsparse_index_base_b,"axG",@progbits,_ZN9rocsparseL22gebsrmvn_mxn_16_kernelILj60ELj10ELj1E21rocsparse_complex_numIdEEEvi20rocsparse_direction_NS_24const_host_device_scalarIT2_EEPKiS8_PKS5_iiSA_S6_PS5_21rocsparse_index_base_b,comdat
	.globl	_ZN9rocsparseL22gebsrmvn_mxn_16_kernelILj60ELj10ELj1E21rocsparse_complex_numIdEEEvi20rocsparse_direction_NS_24const_host_device_scalarIT2_EEPKiS8_PKS5_iiSA_S6_PS5_21rocsparse_index_base_b ; -- Begin function _ZN9rocsparseL22gebsrmvn_mxn_16_kernelILj60ELj10ELj1E21rocsparse_complex_numIdEEEvi20rocsparse_direction_NS_24const_host_device_scalarIT2_EEPKiS8_PKS5_iiSA_S6_PS5_21rocsparse_index_base_b
	.p2align	8
	.type	_ZN9rocsparseL22gebsrmvn_mxn_16_kernelILj60ELj10ELj1E21rocsparse_complex_numIdEEEvi20rocsparse_direction_NS_24const_host_device_scalarIT2_EEPKiS8_PKS5_iiSA_S6_PS5_21rocsparse_index_base_b,@function
_ZN9rocsparseL22gebsrmvn_mxn_16_kernelILj60ELj10ELj1E21rocsparse_complex_numIdEEEvi20rocsparse_direction_NS_24const_host_device_scalarIT2_EEPKiS8_PKS5_iiSA_S6_PS5_21rocsparse_index_base_b: ; @_ZN9rocsparseL22gebsrmvn_mxn_16_kernelILj60ELj10ELj1E21rocsparse_complex_numIdEEEvi20rocsparse_direction_NS_24const_host_device_scalarIT2_EEPKiS8_PKS5_iiSA_S6_PS5_21rocsparse_index_base_b
; %bb.0:
	s_load_dwordx2 s[0:1], s[4:5], 0x8
	s_load_dwordx2 s[2:3], s[4:5], 0x40
	;; [unrolled: 1-line block ×3, first 2 shown]
	s_add_u32 s7, s4, 8
	s_addc_u32 s8, s5, 0
	s_add_u32 s9, s4, 64
	s_addc_u32 s12, s5, 0
	s_waitcnt lgkmcnt(0)
	s_bitcmp1_b32 s11, 0
	s_cselect_b32 s1, s8, s1
	s_cselect_b32 s0, s7, s0
	v_mov_b32_e32 v1, s0
	v_mov_b32_e32 v2, s1
	flat_load_dwordx4 v[5:8], v[1:2]
	s_cselect_b32 s0, s12, s3
	s_cselect_b32 s1, s9, s2
	v_mov_b32_e32 v1, s1
	v_mov_b32_e32 v2, s0
	flat_load_dwordx4 v[1:4], v[1:2]
	s_waitcnt vmcnt(0) lgkmcnt(0)
	v_cmp_eq_f64_e32 vcc, 0, v[5:6]
	v_cmp_eq_f64_e64 s[0:1], 0, v[7:8]
	s_and_b64 s[8:9], vcc, s[0:1]
	s_mov_b64 s[0:1], -1
	s_and_saveexec_b64 s[2:3], s[8:9]
	s_cbranch_execz .LBB112_2
; %bb.1:
	v_cmp_neq_f64_e32 vcc, 1.0, v[1:2]
	v_cmp_neq_f64_e64 s[0:1], 0, v[3:4]
	s_or_b64 s[0:1], vcc, s[0:1]
	s_orn2_b64 s[0:1], s[0:1], exec
.LBB112_2:
	s_or_b64 exec, exec, s[2:3]
	s_and_saveexec_b64 s[2:3], s[0:1]
	s_cbranch_execz .LBB112_22
; %bb.3:
	s_load_dwordx2 s[0:1], s[4:5], 0x18
	s_ashr_i32 s7, s6, 31
	s_lshl_b64 s[2:3], s[6:7], 2
	s_waitcnt lgkmcnt(0)
	s_add_u32 s0, s0, s2
	s_addc_u32 s1, s1, s3
	s_load_dwordx2 s[14:15], s[0:1], 0x0
	s_waitcnt lgkmcnt(0)
	s_cmp_lt_i32 s14, s15
	s_cbranch_scc1 .LBB112_5
; %bb.4:
	s_mov_b64 s[0:1], 0
	s_branch .LBB112_6
.LBB112_5:
	s_mov_b64 s[0:1], -1
.LBB112_6:
	s_load_dwordx2 s[8:9], s[4:5], 0x50
	v_mov_b32_e32 v11, 0
	v_mov_b32_e32 v9, 0
	;; [unrolled: 1-line block ×3, first 2 shown]
	s_andn2_b64 vcc, exec, s[0:1]
	v_mov_b32_e32 v10, 0
	s_cbranch_vccnz .LBB112_11
; %bb.7:
	s_load_dwordx4 s[0:3], s[4:5], 0x20
	s_load_dwordx2 s[12:13], s[4:5], 0x38
	v_mad_u64_u32 v[9:10], s[4:5], s14, 10, v[0:1]
	s_mul_i32 s4, s10, 10
	v_mov_b32_e32 v11, 0
	v_subrev_u32_e32 v13, s4, v9
	v_mov_b32_e32 v12, 0
	v_mov_b32_e32 v9, v11
	s_sub_i32 s7, s15, s10
	s_sub_i32 s11, s14, s10
	v_mul_u32_u24_e32 v17, 0x199a, v0
	v_mov_b32_e32 v14, 0
	v_mov_b32_e32 v10, v12
	s_branch .LBB112_9
.LBB112_8:                              ;   in Loop: Header=BB112_9 Depth=1
	s_or_b64 exec, exec, s[4:5]
	s_add_i32 s11, s11, 6
	s_cmp_ge_i32 s11, s7
	v_add_u32_e32 v13, 60, v13
	s_cbranch_scc1 .LBB112_11
.LBB112_9:                              ; =>This Inner Loop Header: Depth=1
	v_add_u32_sdwa v15, v17, s11 dst_sel:DWORD dst_unused:UNUSED_PAD src0_sel:WORD_1 src1_sel:DWORD
	v_cmp_gt_i32_e32 vcc, s7, v15
	s_and_saveexec_b64 s[4:5], vcc
	s_cbranch_execz .LBB112_8
; %bb.10:                               ;   in Loop: Header=BB112_9 Depth=1
	v_ashrrev_i32_e32 v16, 31, v15
	v_lshlrev_b64 v[15:16], 2, v[15:16]
	s_waitcnt lgkmcnt(0)
	v_mov_b32_e32 v18, s1
	v_add_co_u32_e32 v15, vcc, s0, v15
	v_addc_co_u32_e32 v16, vcc, v18, v16, vcc
	global_load_dword v22, v[15:16], off
	v_lshlrev_b64 v[15:16], 4, v[13:14]
	v_mov_b32_e32 v18, s3
	v_add_co_u32_e32 v15, vcc, s2, v15
	v_addc_co_u32_e32 v16, vcc, v18, v16, vcc
	global_load_dwordx4 v[18:21], v[15:16], off
	v_mov_b32_e32 v23, s13
	s_waitcnt vmcnt(1)
	v_subrev_u32_e32 v15, s10, v22
	v_ashrrev_i32_e32 v16, 31, v15
	v_lshlrev_b64 v[15:16], 4, v[15:16]
	v_add_co_u32_e32 v15, vcc, s12, v15
	v_addc_co_u32_e32 v16, vcc, v23, v16, vcc
	global_load_dwordx4 v[22:25], v[15:16], off
	s_waitcnt vmcnt(0)
	v_fma_f64 v[9:10], v[18:19], v[22:23], v[9:10]
	v_fma_f64 v[11:12], v[20:21], v[22:23], v[11:12]
	v_fma_f64 v[9:10], -v[20:21], v[24:25], v[9:10]
	v_fma_f64 v[11:12], v[18:19], v[24:25], v[11:12]
	s_branch .LBB112_8
.LBB112_11:
	v_lshlrev_b32_e32 v13, 4, v0
	v_cmp_gt_u32_e32 vcc, 20, v0
	ds_write_b128 v13, v[9:12]
	s_waitcnt lgkmcnt(0)
	; wave barrier
	s_and_saveexec_b64 s[0:1], vcc
	s_cbranch_execz .LBB112_13
; %bb.12:
	ds_read_b128 v[9:12], v13 offset:640
	ds_read_b128 v[14:17], v13
	s_waitcnt lgkmcnt(0)
	v_add_f64 v[9:10], v[9:10], v[14:15]
	v_add_f64 v[11:12], v[11:12], v[16:17]
	ds_write_b128 v13, v[9:12]
.LBB112_13:
	s_or_b64 exec, exec, s[0:1]
	s_waitcnt lgkmcnt(0)
	; wave barrier
	s_and_saveexec_b64 s[0:1], vcc
	s_cbranch_execz .LBB112_15
; %bb.14:
	ds_read_b128 v[9:12], v13 offset:320
	ds_read_b128 v[14:17], v13
	s_waitcnt lgkmcnt(0)
	v_add_f64 v[9:10], v[9:10], v[14:15]
	v_add_f64 v[11:12], v[11:12], v[16:17]
	ds_write_b128 v13, v[9:12]
.LBB112_15:
	s_or_b64 exec, exec, s[0:1]
	v_cmp_gt_u32_e32 vcc, 10, v0
	s_waitcnt lgkmcnt(0)
	; wave barrier
	s_and_saveexec_b64 s[0:1], vcc
	s_cbranch_execz .LBB112_17
; %bb.16:
	ds_read_b128 v[9:12], v13 offset:160
	ds_read_b128 v[14:17], v13
	s_waitcnt lgkmcnt(0)
	v_add_f64 v[9:10], v[9:10], v[14:15]
	v_add_f64 v[11:12], v[11:12], v[16:17]
	ds_write_b128 v13, v[9:12]
.LBB112_17:
	s_or_b64 exec, exec, s[0:1]
	s_waitcnt lgkmcnt(0)
	; wave barrier
	s_and_b64 exec, exec, vcc
	s_cbranch_execz .LBB112_22
; %bb.18:
	ds_read_b128 v[9:12], v13
	v_cmp_eq_f64_e32 vcc, 0, v[1:2]
	v_cmp_eq_f64_e64 s[0:1], 0, v[3:4]
	s_waitcnt lgkmcnt(0)
	v_mul_f64 v[13:14], v[11:12], -v[7:8]
	v_mul_f64 v[11:12], v[5:6], v[11:12]
	s_and_b64 s[0:1], vcc, s[0:1]
	v_fma_f64 v[5:6], v[5:6], v[9:10], v[13:14]
	v_fma_f64 v[7:8], v[7:8], v[9:10], v[11:12]
	s_and_saveexec_b64 s[2:3], s[0:1]
	s_xor_b64 s[0:1], exec, s[2:3]
	s_cbranch_execz .LBB112_20
; %bb.19:
	v_mad_u64_u32 v[0:1], s[2:3], s6, 10, v[0:1]
	v_mov_b32_e32 v1, 0
	v_mov_b32_e32 v2, s9
	v_lshlrev_b64 v[0:1], 4, v[0:1]
	v_add_co_u32_e32 v0, vcc, s8, v0
	v_addc_co_u32_e32 v1, vcc, v2, v1, vcc
	global_store_dwordx4 v[0:1], v[5:8], off
                                        ; implicit-def: $vgpr0
                                        ; implicit-def: $vgpr1_vgpr2
                                        ; implicit-def: $vgpr5_vgpr6
.LBB112_20:
	s_andn2_saveexec_b64 s[0:1], s[0:1]
	s_cbranch_execz .LBB112_22
; %bb.21:
	v_mad_u64_u32 v[9:10], s[0:1], s6, 10, v[0:1]
	v_mov_b32_e32 v10, 0
	v_mov_b32_e32 v0, s9
	v_lshlrev_b64 v[9:10], 4, v[9:10]
	v_add_co_u32_e32 v13, vcc, s8, v9
	v_addc_co_u32_e32 v14, vcc, v0, v10, vcc
	global_load_dwordx4 v[9:12], v[13:14], off
	s_waitcnt vmcnt(0)
	v_fma_f64 v[5:6], v[1:2], v[9:10], v[5:6]
	v_fma_f64 v[7:8], v[3:4], v[9:10], v[7:8]
	v_fma_f64 v[3:4], -v[3:4], v[11:12], v[5:6]
	v_fma_f64 v[5:6], v[1:2], v[11:12], v[7:8]
	global_store_dwordx4 v[13:14], v[3:6], off
.LBB112_22:
	s_endpgm
	.section	.rodata,"a",@progbits
	.p2align	6, 0x0
	.amdhsa_kernel _ZN9rocsparseL22gebsrmvn_mxn_16_kernelILj60ELj10ELj1E21rocsparse_complex_numIdEEEvi20rocsparse_direction_NS_24const_host_device_scalarIT2_EEPKiS8_PKS5_iiSA_S6_PS5_21rocsparse_index_base_b
		.amdhsa_group_segment_fixed_size 960
		.amdhsa_private_segment_fixed_size 0
		.amdhsa_kernarg_size 96
		.amdhsa_user_sgpr_count 6
		.amdhsa_user_sgpr_private_segment_buffer 1
		.amdhsa_user_sgpr_dispatch_ptr 0
		.amdhsa_user_sgpr_queue_ptr 0
		.amdhsa_user_sgpr_kernarg_segment_ptr 1
		.amdhsa_user_sgpr_dispatch_id 0
		.amdhsa_user_sgpr_flat_scratch_init 0
		.amdhsa_user_sgpr_private_segment_size 0
		.amdhsa_uses_dynamic_stack 0
		.amdhsa_system_sgpr_private_segment_wavefront_offset 0
		.amdhsa_system_sgpr_workgroup_id_x 1
		.amdhsa_system_sgpr_workgroup_id_y 0
		.amdhsa_system_sgpr_workgroup_id_z 0
		.amdhsa_system_sgpr_workgroup_info 0
		.amdhsa_system_vgpr_workitem_id 0
		.amdhsa_next_free_vgpr 26
		.amdhsa_next_free_sgpr 16
		.amdhsa_reserve_vcc 1
		.amdhsa_reserve_flat_scratch 0
		.amdhsa_float_round_mode_32 0
		.amdhsa_float_round_mode_16_64 0
		.amdhsa_float_denorm_mode_32 3
		.amdhsa_float_denorm_mode_16_64 3
		.amdhsa_dx10_clamp 1
		.amdhsa_ieee_mode 1
		.amdhsa_fp16_overflow 0
		.amdhsa_exception_fp_ieee_invalid_op 0
		.amdhsa_exception_fp_denorm_src 0
		.amdhsa_exception_fp_ieee_div_zero 0
		.amdhsa_exception_fp_ieee_overflow 0
		.amdhsa_exception_fp_ieee_underflow 0
		.amdhsa_exception_fp_ieee_inexact 0
		.amdhsa_exception_int_div_zero 0
	.end_amdhsa_kernel
	.section	.text._ZN9rocsparseL22gebsrmvn_mxn_16_kernelILj60ELj10ELj1E21rocsparse_complex_numIdEEEvi20rocsparse_direction_NS_24const_host_device_scalarIT2_EEPKiS8_PKS5_iiSA_S6_PS5_21rocsparse_index_base_b,"axG",@progbits,_ZN9rocsparseL22gebsrmvn_mxn_16_kernelILj60ELj10ELj1E21rocsparse_complex_numIdEEEvi20rocsparse_direction_NS_24const_host_device_scalarIT2_EEPKiS8_PKS5_iiSA_S6_PS5_21rocsparse_index_base_b,comdat
.Lfunc_end112:
	.size	_ZN9rocsparseL22gebsrmvn_mxn_16_kernelILj60ELj10ELj1E21rocsparse_complex_numIdEEEvi20rocsparse_direction_NS_24const_host_device_scalarIT2_EEPKiS8_PKS5_iiSA_S6_PS5_21rocsparse_index_base_b, .Lfunc_end112-_ZN9rocsparseL22gebsrmvn_mxn_16_kernelILj60ELj10ELj1E21rocsparse_complex_numIdEEEvi20rocsparse_direction_NS_24const_host_device_scalarIT2_EEPKiS8_PKS5_iiSA_S6_PS5_21rocsparse_index_base_b
                                        ; -- End function
	.set _ZN9rocsparseL22gebsrmvn_mxn_16_kernelILj60ELj10ELj1E21rocsparse_complex_numIdEEEvi20rocsparse_direction_NS_24const_host_device_scalarIT2_EEPKiS8_PKS5_iiSA_S6_PS5_21rocsparse_index_base_b.num_vgpr, 26
	.set _ZN9rocsparseL22gebsrmvn_mxn_16_kernelILj60ELj10ELj1E21rocsparse_complex_numIdEEEvi20rocsparse_direction_NS_24const_host_device_scalarIT2_EEPKiS8_PKS5_iiSA_S6_PS5_21rocsparse_index_base_b.num_agpr, 0
	.set _ZN9rocsparseL22gebsrmvn_mxn_16_kernelILj60ELj10ELj1E21rocsparse_complex_numIdEEEvi20rocsparse_direction_NS_24const_host_device_scalarIT2_EEPKiS8_PKS5_iiSA_S6_PS5_21rocsparse_index_base_b.numbered_sgpr, 16
	.set _ZN9rocsparseL22gebsrmvn_mxn_16_kernelILj60ELj10ELj1E21rocsparse_complex_numIdEEEvi20rocsparse_direction_NS_24const_host_device_scalarIT2_EEPKiS8_PKS5_iiSA_S6_PS5_21rocsparse_index_base_b.num_named_barrier, 0
	.set _ZN9rocsparseL22gebsrmvn_mxn_16_kernelILj60ELj10ELj1E21rocsparse_complex_numIdEEEvi20rocsparse_direction_NS_24const_host_device_scalarIT2_EEPKiS8_PKS5_iiSA_S6_PS5_21rocsparse_index_base_b.private_seg_size, 0
	.set _ZN9rocsparseL22gebsrmvn_mxn_16_kernelILj60ELj10ELj1E21rocsparse_complex_numIdEEEvi20rocsparse_direction_NS_24const_host_device_scalarIT2_EEPKiS8_PKS5_iiSA_S6_PS5_21rocsparse_index_base_b.uses_vcc, 1
	.set _ZN9rocsparseL22gebsrmvn_mxn_16_kernelILj60ELj10ELj1E21rocsparse_complex_numIdEEEvi20rocsparse_direction_NS_24const_host_device_scalarIT2_EEPKiS8_PKS5_iiSA_S6_PS5_21rocsparse_index_base_b.uses_flat_scratch, 0
	.set _ZN9rocsparseL22gebsrmvn_mxn_16_kernelILj60ELj10ELj1E21rocsparse_complex_numIdEEEvi20rocsparse_direction_NS_24const_host_device_scalarIT2_EEPKiS8_PKS5_iiSA_S6_PS5_21rocsparse_index_base_b.has_dyn_sized_stack, 0
	.set _ZN9rocsparseL22gebsrmvn_mxn_16_kernelILj60ELj10ELj1E21rocsparse_complex_numIdEEEvi20rocsparse_direction_NS_24const_host_device_scalarIT2_EEPKiS8_PKS5_iiSA_S6_PS5_21rocsparse_index_base_b.has_recursion, 0
	.set _ZN9rocsparseL22gebsrmvn_mxn_16_kernelILj60ELj10ELj1E21rocsparse_complex_numIdEEEvi20rocsparse_direction_NS_24const_host_device_scalarIT2_EEPKiS8_PKS5_iiSA_S6_PS5_21rocsparse_index_base_b.has_indirect_call, 0
	.section	.AMDGPU.csdata,"",@progbits
; Kernel info:
; codeLenInByte = 928
; TotalNumSgprs: 20
; NumVgprs: 26
; ScratchSize: 0
; MemoryBound: 0
; FloatMode: 240
; IeeeMode: 1
; LDSByteSize: 960 bytes/workgroup (compile time only)
; SGPRBlocks: 2
; VGPRBlocks: 6
; NumSGPRsForWavesPerEU: 20
; NumVGPRsForWavesPerEU: 26
; Occupancy: 9
; WaveLimiterHint : 1
; COMPUTE_PGM_RSRC2:SCRATCH_EN: 0
; COMPUTE_PGM_RSRC2:USER_SGPR: 6
; COMPUTE_PGM_RSRC2:TRAP_HANDLER: 0
; COMPUTE_PGM_RSRC2:TGID_X_EN: 1
; COMPUTE_PGM_RSRC2:TGID_Y_EN: 0
; COMPUTE_PGM_RSRC2:TGID_Z_EN: 0
; COMPUTE_PGM_RSRC2:TIDIG_COMP_CNT: 0
	.section	.text._ZN9rocsparseL22gebsrmvn_mxn_16_kernelILj60ELj10ELj2E21rocsparse_complex_numIdEEEvi20rocsparse_direction_NS_24const_host_device_scalarIT2_EEPKiS8_PKS5_iiSA_S6_PS5_21rocsparse_index_base_b,"axG",@progbits,_ZN9rocsparseL22gebsrmvn_mxn_16_kernelILj60ELj10ELj2E21rocsparse_complex_numIdEEEvi20rocsparse_direction_NS_24const_host_device_scalarIT2_EEPKiS8_PKS5_iiSA_S6_PS5_21rocsparse_index_base_b,comdat
	.globl	_ZN9rocsparseL22gebsrmvn_mxn_16_kernelILj60ELj10ELj2E21rocsparse_complex_numIdEEEvi20rocsparse_direction_NS_24const_host_device_scalarIT2_EEPKiS8_PKS5_iiSA_S6_PS5_21rocsparse_index_base_b ; -- Begin function _ZN9rocsparseL22gebsrmvn_mxn_16_kernelILj60ELj10ELj2E21rocsparse_complex_numIdEEEvi20rocsparse_direction_NS_24const_host_device_scalarIT2_EEPKiS8_PKS5_iiSA_S6_PS5_21rocsparse_index_base_b
	.p2align	8
	.type	_ZN9rocsparseL22gebsrmvn_mxn_16_kernelILj60ELj10ELj2E21rocsparse_complex_numIdEEEvi20rocsparse_direction_NS_24const_host_device_scalarIT2_EEPKiS8_PKS5_iiSA_S6_PS5_21rocsparse_index_base_b,@function
_ZN9rocsparseL22gebsrmvn_mxn_16_kernelILj60ELj10ELj2E21rocsparse_complex_numIdEEEvi20rocsparse_direction_NS_24const_host_device_scalarIT2_EEPKiS8_PKS5_iiSA_S6_PS5_21rocsparse_index_base_b: ; @_ZN9rocsparseL22gebsrmvn_mxn_16_kernelILj60ELj10ELj2E21rocsparse_complex_numIdEEEvi20rocsparse_direction_NS_24const_host_device_scalarIT2_EEPKiS8_PKS5_iiSA_S6_PS5_21rocsparse_index_base_b
; %bb.0:
	s_load_dwordx2 s[0:1], s[4:5], 0x8
	s_load_dwordx2 s[2:3], s[4:5], 0x40
	;; [unrolled: 1-line block ×3, first 2 shown]
	s_add_u32 s7, s4, 8
	s_addc_u32 s8, s5, 0
	s_add_u32 s9, s4, 64
	s_addc_u32 s10, s5, 0
	s_waitcnt lgkmcnt(0)
	s_bitcmp1_b32 s13, 0
	s_cselect_b32 s1, s8, s1
	s_cselect_b32 s0, s7, s0
	v_mov_b32_e32 v1, s0
	v_mov_b32_e32 v2, s1
	flat_load_dwordx4 v[5:8], v[1:2]
	s_cselect_b32 s0, s10, s3
	s_cselect_b32 s1, s9, s2
	v_mov_b32_e32 v1, s1
	v_mov_b32_e32 v2, s0
	flat_load_dwordx4 v[1:4], v[1:2]
	s_waitcnt vmcnt(0) lgkmcnt(0)
	v_cmp_eq_f64_e32 vcc, 0, v[5:6]
	v_cmp_eq_f64_e64 s[0:1], 0, v[7:8]
	s_and_b64 s[8:9], vcc, s[0:1]
	s_mov_b64 s[0:1], -1
	s_and_saveexec_b64 s[2:3], s[8:9]
	s_cbranch_execz .LBB113_2
; %bb.1:
	v_cmp_neq_f64_e32 vcc, 1.0, v[1:2]
	v_cmp_neq_f64_e64 s[0:1], 0, v[3:4]
	s_or_b64 s[0:1], vcc, s[0:1]
	s_orn2_b64 s[0:1], s[0:1], exec
.LBB113_2:
	s_or_b64 exec, exec, s[2:3]
	s_and_saveexec_b64 s[2:3], s[0:1]
	s_cbranch_execz .LBB113_31
; %bb.3:
	s_load_dword s2, s[4:5], 0x4
	s_load_dwordx2 s[0:1], s[4:5], 0x18
	v_and_b32_e32 v17, 1, v0
	v_mov_b32_e32 v18, v17
	s_waitcnt lgkmcnt(0)
	s_cmp_lg_u32 s2, 1
	s_cselect_b64 s[10:11], -1, 0
	s_and_b64 vcc, exec, s[10:11]
	s_cbranch_vccnz .LBB113_5
; %bb.4:
	v_mul_u32_u24_e32 v9, 0x199a, v0
	v_bfe_u32 v18, v9, 16, 1
.LBB113_5:
	s_ashr_i32 s7, s6, 31
	s_lshl_b64 s[2:3], s[6:7], 2
	s_add_u32 s0, s0, s2
	s_addc_u32 s1, s1, s3
	s_load_dwordx2 s[16:17], s[0:1], 0x0
	s_load_dwordx2 s[8:9], s[4:5], 0x50
	v_mov_b32_e32 v11, 0
	v_mov_b32_e32 v9, 0
	;; [unrolled: 1-line block ×3, first 2 shown]
	s_waitcnt lgkmcnt(0)
	s_cmp_ge_i32 s16, s17
	v_mov_b32_e32 v10, 0
	s_cbranch_scc1 .LBB113_10
; %bb.6:
	s_load_dwordx4 s[0:3], s[4:5], 0x20
	s_load_dwordx2 s[14:15], s[4:5], 0x38
	v_mad_u64_u32 v[9:10], s[4:5], s16, 20, v[0:1]
	s_mul_i32 s4, s12, 20
	v_mov_b32_e32 v11, 0
	v_subrev_u32_e32 v13, s4, v9
	v_mov_b32_e32 v12, 0
	v_mov_b32_e32 v9, v11
	s_sub_i32 s7, s17, s12
	s_sub_i32 s13, s16, s12
	v_mul_u32_u24_e32 v19, 0xccd, v0
	v_mov_b32_e32 v14, 0
	v_mov_b32_e32 v10, v12
	s_branch .LBB113_8
.LBB113_7:                              ;   in Loop: Header=BB113_8 Depth=1
	s_or_b64 exec, exec, s[4:5]
	s_add_i32 s13, s13, 3
	s_cmp_ge_i32 s13, s7
	v_add_u32_e32 v13, 60, v13
	s_cbranch_scc1 .LBB113_10
.LBB113_8:                              ; =>This Inner Loop Header: Depth=1
	v_add_u32_sdwa v15, v19, s13 dst_sel:DWORD dst_unused:UNUSED_PAD src0_sel:WORD_1 src1_sel:DWORD
	v_cmp_gt_i32_e32 vcc, s7, v15
	s_and_saveexec_b64 s[4:5], vcc
	s_cbranch_execz .LBB113_7
; %bb.9:                                ;   in Loop: Header=BB113_8 Depth=1
	v_ashrrev_i32_e32 v16, 31, v15
	v_lshlrev_b64 v[15:16], 2, v[15:16]
	s_waitcnt lgkmcnt(0)
	v_mov_b32_e32 v20, s1
	v_add_co_u32_e32 v15, vcc, s0, v15
	v_addc_co_u32_e32 v16, vcc, v20, v16, vcc
	global_load_dword v24, v[15:16], off
	v_lshlrev_b64 v[15:16], 4, v[13:14]
	v_mov_b32_e32 v20, s3
	v_add_co_u32_e32 v15, vcc, s2, v15
	v_addc_co_u32_e32 v16, vcc, v20, v16, vcc
	global_load_dwordx4 v[20:23], v[15:16], off
	v_mov_b32_e32 v25, s15
	s_waitcnt vmcnt(1)
	v_subrev_u32_e32 v15, s12, v24
	v_lshl_or_b32 v15, v15, 1, v18
	v_ashrrev_i32_e32 v16, 31, v15
	v_lshlrev_b64 v[15:16], 4, v[15:16]
	v_add_co_u32_e32 v15, vcc, s14, v15
	v_addc_co_u32_e32 v16, vcc, v25, v16, vcc
	global_load_dwordx4 v[24:27], v[15:16], off
	s_waitcnt vmcnt(0)
	v_fma_f64 v[9:10], v[20:21], v[24:25], v[9:10]
	v_fma_f64 v[11:12], v[22:23], v[24:25], v[11:12]
	v_fma_f64 v[9:10], -v[22:23], v[26:27], v[9:10]
	v_fma_f64 v[11:12], v[20:21], v[26:27], v[11:12]
	s_branch .LBB113_7
.LBB113_10:
	v_lshlrev_b32_e32 v18, 4, v0
	v_cmp_gt_u32_e32 vcc, 20, v0
	ds_write_b128 v18, v[9:12]
	s_waitcnt lgkmcnt(0)
	; wave barrier
	s_and_saveexec_b64 s[0:1], vcc
	s_cbranch_execz .LBB113_12
; %bb.11:
	ds_read_b128 v[13:16], v18 offset:640
	ds_read_b128 v[19:22], v18
	s_waitcnt lgkmcnt(0)
	v_add_f64 v[13:14], v[13:14], v[19:20]
	v_add_f64 v[15:16], v[15:16], v[21:22]
	ds_write_b128 v18, v[13:16]
.LBB113_12:
	s_or_b64 exec, exec, s[0:1]
	s_waitcnt lgkmcnt(0)
	; wave barrier
	s_and_saveexec_b64 s[0:1], vcc
	s_cbranch_execz .LBB113_14
; %bb.13:
	ds_read_b128 v[13:16], v18 offset:320
	ds_read_b128 v[19:22], v18
	s_waitcnt lgkmcnt(0)
	v_add_f64 v[13:14], v[13:14], v[19:20]
	v_add_f64 v[15:16], v[15:16], v[21:22]
	ds_write_b128 v18, v[13:16]
.LBB113_14:
	s_or_b64 exec, exec, s[0:1]
	s_and_b64 vcc, exec, s[10:11]
	s_waitcnt lgkmcnt(0)
	; wave barrier
	s_cbranch_vccz .LBB113_20
; %bb.15:
	v_cmp_eq_u32_e32 vcc, 0, v17
	s_and_saveexec_b64 s[0:1], vcc
	s_cbranch_execz .LBB113_17
; %bb.16:
	ds_read_b128 v[13:16], v18
	ds_read_b128 v[19:22], v18 offset:16
	s_waitcnt lgkmcnt(0)
	v_add_f64 v[13:14], v[19:20], v[13:14]
	v_add_f64 v[15:16], v[21:22], v[15:16]
	ds_write_b128 v18, v[13:16]
.LBB113_17:
	s_or_b64 exec, exec, s[0:1]
	v_mov_b32_e32 v16, v12
	v_mov_b32_e32 v14, v10
	v_cmp_gt_u32_e32 vcc, 10, v0
	v_mov_b32_e32 v15, v11
	v_mov_b32_e32 v13, v9
	s_waitcnt lgkmcnt(0)
	; wave barrier
	s_and_saveexec_b64 s[0:1], vcc
; %bb.18:
	v_lshl_add_u32 v13, v0, 4, v18
	ds_read_b128 v[13:16], v13
; %bb.19:
	s_or_b64 exec, exec, s[0:1]
	s_branch .LBB113_26
.LBB113_20:
                                        ; implicit-def: $vgpr15_vgpr16
	s_cbranch_execz .LBB113_26
; %bb.21:
	v_cmp_lt_u32_e32 vcc, 9, v0
	s_and_saveexec_b64 s[0:1], vcc
	s_xor_b64 s[0:1], exec, s[0:1]
	s_cbranch_execz .LBB113_23
; %bb.22:
	s_waitcnt lgkmcnt(0)
                                        ; implicit-def: $vgpr18
.LBB113_23:
	s_andn2_saveexec_b64 s[0:1], s[0:1]
	s_cbranch_execz .LBB113_25
; %bb.24:
	ds_read_b128 v[9:12], v18 offset:160
	s_waitcnt lgkmcnt(1)
	ds_read_b128 v[13:16], v18
	s_waitcnt lgkmcnt(0)
	v_add_f64 v[9:10], v[9:10], v[13:14]
	v_add_f64 v[11:12], v[11:12], v[15:16]
	ds_write_b128 v18, v[9:12]
	s_waitcnt lgkmcnt(0)
	ds_read_b128 v[9:12], v18
.LBB113_25:
	s_or_b64 exec, exec, s[0:1]
	s_waitcnt lgkmcnt(0)
	v_mov_b32_e32 v14, v10
	v_mov_b32_e32 v16, v12
	;; [unrolled: 1-line block ×4, first 2 shown]
.LBB113_26:
	v_cmp_gt_u32_e32 vcc, 10, v0
	s_and_b64 exec, exec, vcc
	s_cbranch_execz .LBB113_31
; %bb.27:
	s_waitcnt lgkmcnt(0)
	v_mul_f64 v[9:10], v[15:16], -v[7:8]
	v_mul_f64 v[11:12], v[5:6], v[15:16]
	v_cmp_eq_f64_e32 vcc, 0, v[1:2]
	v_cmp_eq_f64_e64 s[0:1], 0, v[3:4]
	v_fma_f64 v[5:6], v[5:6], v[13:14], v[9:10]
	v_fma_f64 v[7:8], v[7:8], v[13:14], v[11:12]
	s_and_b64 s[0:1], vcc, s[0:1]
	s_and_saveexec_b64 s[2:3], s[0:1]
	s_xor_b64 s[0:1], exec, s[2:3]
	s_cbranch_execz .LBB113_29
; %bb.28:
	v_mad_u64_u32 v[0:1], s[2:3], s6, 10, v[0:1]
	v_mov_b32_e32 v1, 0
	v_mov_b32_e32 v2, s9
	v_lshlrev_b64 v[0:1], 4, v[0:1]
	v_add_co_u32_e32 v0, vcc, s8, v0
	v_addc_co_u32_e32 v1, vcc, v2, v1, vcc
	global_store_dwordx4 v[0:1], v[5:8], off
                                        ; implicit-def: $vgpr0
                                        ; implicit-def: $vgpr1_vgpr2
                                        ; implicit-def: $vgpr5_vgpr6
.LBB113_29:
	s_andn2_saveexec_b64 s[0:1], s[0:1]
	s_cbranch_execz .LBB113_31
; %bb.30:
	v_mad_u64_u32 v[9:10], s[0:1], s6, 10, v[0:1]
	v_mov_b32_e32 v10, 0
	v_mov_b32_e32 v0, s9
	v_lshlrev_b64 v[9:10], 4, v[9:10]
	v_add_co_u32_e32 v13, vcc, s8, v9
	v_addc_co_u32_e32 v14, vcc, v0, v10, vcc
	global_load_dwordx4 v[9:12], v[13:14], off
	s_waitcnt vmcnt(0)
	v_fma_f64 v[5:6], v[1:2], v[9:10], v[5:6]
	v_fma_f64 v[7:8], v[3:4], v[9:10], v[7:8]
	v_fma_f64 v[3:4], -v[3:4], v[11:12], v[5:6]
	v_fma_f64 v[5:6], v[1:2], v[11:12], v[7:8]
	global_store_dwordx4 v[13:14], v[3:6], off
.LBB113_31:
	s_endpgm
	.section	.rodata,"a",@progbits
	.p2align	6, 0x0
	.amdhsa_kernel _ZN9rocsparseL22gebsrmvn_mxn_16_kernelILj60ELj10ELj2E21rocsparse_complex_numIdEEEvi20rocsparse_direction_NS_24const_host_device_scalarIT2_EEPKiS8_PKS5_iiSA_S6_PS5_21rocsparse_index_base_b
		.amdhsa_group_segment_fixed_size 960
		.amdhsa_private_segment_fixed_size 0
		.amdhsa_kernarg_size 96
		.amdhsa_user_sgpr_count 6
		.amdhsa_user_sgpr_private_segment_buffer 1
		.amdhsa_user_sgpr_dispatch_ptr 0
		.amdhsa_user_sgpr_queue_ptr 0
		.amdhsa_user_sgpr_kernarg_segment_ptr 1
		.amdhsa_user_sgpr_dispatch_id 0
		.amdhsa_user_sgpr_flat_scratch_init 0
		.amdhsa_user_sgpr_private_segment_size 0
		.amdhsa_uses_dynamic_stack 0
		.amdhsa_system_sgpr_private_segment_wavefront_offset 0
		.amdhsa_system_sgpr_workgroup_id_x 1
		.amdhsa_system_sgpr_workgroup_id_y 0
		.amdhsa_system_sgpr_workgroup_id_z 0
		.amdhsa_system_sgpr_workgroup_info 0
		.amdhsa_system_vgpr_workitem_id 0
		.amdhsa_next_free_vgpr 28
		.amdhsa_next_free_sgpr 18
		.amdhsa_reserve_vcc 1
		.amdhsa_reserve_flat_scratch 0
		.amdhsa_float_round_mode_32 0
		.amdhsa_float_round_mode_16_64 0
		.amdhsa_float_denorm_mode_32 3
		.amdhsa_float_denorm_mode_16_64 3
		.amdhsa_dx10_clamp 1
		.amdhsa_ieee_mode 1
		.amdhsa_fp16_overflow 0
		.amdhsa_exception_fp_ieee_invalid_op 0
		.amdhsa_exception_fp_denorm_src 0
		.amdhsa_exception_fp_ieee_div_zero 0
		.amdhsa_exception_fp_ieee_overflow 0
		.amdhsa_exception_fp_ieee_underflow 0
		.amdhsa_exception_fp_ieee_inexact 0
		.amdhsa_exception_int_div_zero 0
	.end_amdhsa_kernel
	.section	.text._ZN9rocsparseL22gebsrmvn_mxn_16_kernelILj60ELj10ELj2E21rocsparse_complex_numIdEEEvi20rocsparse_direction_NS_24const_host_device_scalarIT2_EEPKiS8_PKS5_iiSA_S6_PS5_21rocsparse_index_base_b,"axG",@progbits,_ZN9rocsparseL22gebsrmvn_mxn_16_kernelILj60ELj10ELj2E21rocsparse_complex_numIdEEEvi20rocsparse_direction_NS_24const_host_device_scalarIT2_EEPKiS8_PKS5_iiSA_S6_PS5_21rocsparse_index_base_b,comdat
.Lfunc_end113:
	.size	_ZN9rocsparseL22gebsrmvn_mxn_16_kernelILj60ELj10ELj2E21rocsparse_complex_numIdEEEvi20rocsparse_direction_NS_24const_host_device_scalarIT2_EEPKiS8_PKS5_iiSA_S6_PS5_21rocsparse_index_base_b, .Lfunc_end113-_ZN9rocsparseL22gebsrmvn_mxn_16_kernelILj60ELj10ELj2E21rocsparse_complex_numIdEEEvi20rocsparse_direction_NS_24const_host_device_scalarIT2_EEPKiS8_PKS5_iiSA_S6_PS5_21rocsparse_index_base_b
                                        ; -- End function
	.set _ZN9rocsparseL22gebsrmvn_mxn_16_kernelILj60ELj10ELj2E21rocsparse_complex_numIdEEEvi20rocsparse_direction_NS_24const_host_device_scalarIT2_EEPKiS8_PKS5_iiSA_S6_PS5_21rocsparse_index_base_b.num_vgpr, 28
	.set _ZN9rocsparseL22gebsrmvn_mxn_16_kernelILj60ELj10ELj2E21rocsparse_complex_numIdEEEvi20rocsparse_direction_NS_24const_host_device_scalarIT2_EEPKiS8_PKS5_iiSA_S6_PS5_21rocsparse_index_base_b.num_agpr, 0
	.set _ZN9rocsparseL22gebsrmvn_mxn_16_kernelILj60ELj10ELj2E21rocsparse_complex_numIdEEEvi20rocsparse_direction_NS_24const_host_device_scalarIT2_EEPKiS8_PKS5_iiSA_S6_PS5_21rocsparse_index_base_b.numbered_sgpr, 18
	.set _ZN9rocsparseL22gebsrmvn_mxn_16_kernelILj60ELj10ELj2E21rocsparse_complex_numIdEEEvi20rocsparse_direction_NS_24const_host_device_scalarIT2_EEPKiS8_PKS5_iiSA_S6_PS5_21rocsparse_index_base_b.num_named_barrier, 0
	.set _ZN9rocsparseL22gebsrmvn_mxn_16_kernelILj60ELj10ELj2E21rocsparse_complex_numIdEEEvi20rocsparse_direction_NS_24const_host_device_scalarIT2_EEPKiS8_PKS5_iiSA_S6_PS5_21rocsparse_index_base_b.private_seg_size, 0
	.set _ZN9rocsparseL22gebsrmvn_mxn_16_kernelILj60ELj10ELj2E21rocsparse_complex_numIdEEEvi20rocsparse_direction_NS_24const_host_device_scalarIT2_EEPKiS8_PKS5_iiSA_S6_PS5_21rocsparse_index_base_b.uses_vcc, 1
	.set _ZN9rocsparseL22gebsrmvn_mxn_16_kernelILj60ELj10ELj2E21rocsparse_complex_numIdEEEvi20rocsparse_direction_NS_24const_host_device_scalarIT2_EEPKiS8_PKS5_iiSA_S6_PS5_21rocsparse_index_base_b.uses_flat_scratch, 0
	.set _ZN9rocsparseL22gebsrmvn_mxn_16_kernelILj60ELj10ELj2E21rocsparse_complex_numIdEEEvi20rocsparse_direction_NS_24const_host_device_scalarIT2_EEPKiS8_PKS5_iiSA_S6_PS5_21rocsparse_index_base_b.has_dyn_sized_stack, 0
	.set _ZN9rocsparseL22gebsrmvn_mxn_16_kernelILj60ELj10ELj2E21rocsparse_complex_numIdEEEvi20rocsparse_direction_NS_24const_host_device_scalarIT2_EEPKiS8_PKS5_iiSA_S6_PS5_21rocsparse_index_base_b.has_recursion, 0
	.set _ZN9rocsparseL22gebsrmvn_mxn_16_kernelILj60ELj10ELj2E21rocsparse_complex_numIdEEEvi20rocsparse_direction_NS_24const_host_device_scalarIT2_EEPKiS8_PKS5_iiSA_S6_PS5_21rocsparse_index_base_b.has_indirect_call, 0
	.section	.AMDGPU.csdata,"",@progbits
; Kernel info:
; codeLenInByte = 1132
; TotalNumSgprs: 22
; NumVgprs: 28
; ScratchSize: 0
; MemoryBound: 0
; FloatMode: 240
; IeeeMode: 1
; LDSByteSize: 960 bytes/workgroup (compile time only)
; SGPRBlocks: 2
; VGPRBlocks: 6
; NumSGPRsForWavesPerEU: 22
; NumVGPRsForWavesPerEU: 28
; Occupancy: 9
; WaveLimiterHint : 1
; COMPUTE_PGM_RSRC2:SCRATCH_EN: 0
; COMPUTE_PGM_RSRC2:USER_SGPR: 6
; COMPUTE_PGM_RSRC2:TRAP_HANDLER: 0
; COMPUTE_PGM_RSRC2:TGID_X_EN: 1
; COMPUTE_PGM_RSRC2:TGID_Y_EN: 0
; COMPUTE_PGM_RSRC2:TGID_Z_EN: 0
; COMPUTE_PGM_RSRC2:TIDIG_COMP_CNT: 0
	.section	.text._ZN9rocsparseL22gebsrmvn_mxn_16_kernelILj60ELj10ELj3E21rocsparse_complex_numIdEEEvi20rocsparse_direction_NS_24const_host_device_scalarIT2_EEPKiS8_PKS5_iiSA_S6_PS5_21rocsparse_index_base_b,"axG",@progbits,_ZN9rocsparseL22gebsrmvn_mxn_16_kernelILj60ELj10ELj3E21rocsparse_complex_numIdEEEvi20rocsparse_direction_NS_24const_host_device_scalarIT2_EEPKiS8_PKS5_iiSA_S6_PS5_21rocsparse_index_base_b,comdat
	.globl	_ZN9rocsparseL22gebsrmvn_mxn_16_kernelILj60ELj10ELj3E21rocsparse_complex_numIdEEEvi20rocsparse_direction_NS_24const_host_device_scalarIT2_EEPKiS8_PKS5_iiSA_S6_PS5_21rocsparse_index_base_b ; -- Begin function _ZN9rocsparseL22gebsrmvn_mxn_16_kernelILj60ELj10ELj3E21rocsparse_complex_numIdEEEvi20rocsparse_direction_NS_24const_host_device_scalarIT2_EEPKiS8_PKS5_iiSA_S6_PS5_21rocsparse_index_base_b
	.p2align	8
	.type	_ZN9rocsparseL22gebsrmvn_mxn_16_kernelILj60ELj10ELj3E21rocsparse_complex_numIdEEEvi20rocsparse_direction_NS_24const_host_device_scalarIT2_EEPKiS8_PKS5_iiSA_S6_PS5_21rocsparse_index_base_b,@function
_ZN9rocsparseL22gebsrmvn_mxn_16_kernelILj60ELj10ELj3E21rocsparse_complex_numIdEEEvi20rocsparse_direction_NS_24const_host_device_scalarIT2_EEPKiS8_PKS5_iiSA_S6_PS5_21rocsparse_index_base_b: ; @_ZN9rocsparseL22gebsrmvn_mxn_16_kernelILj60ELj10ELj3E21rocsparse_complex_numIdEEEvi20rocsparse_direction_NS_24const_host_device_scalarIT2_EEPKiS8_PKS5_iiSA_S6_PS5_21rocsparse_index_base_b
; %bb.0:
	s_load_dwordx2 s[0:1], s[4:5], 0x8
	s_load_dwordx2 s[2:3], s[4:5], 0x40
	;; [unrolled: 1-line block ×3, first 2 shown]
	s_add_u32 s7, s4, 8
	s_addc_u32 s8, s5, 0
	s_add_u32 s9, s4, 64
	s_addc_u32 s12, s5, 0
	s_waitcnt lgkmcnt(0)
	s_bitcmp1_b32 s11, 0
	s_cselect_b32 s1, s8, s1
	s_cselect_b32 s0, s7, s0
	v_mov_b32_e32 v1, s0
	v_mov_b32_e32 v2, s1
	flat_load_dwordx4 v[5:8], v[1:2]
	s_cselect_b32 s0, s12, s3
	s_cselect_b32 s1, s9, s2
	v_mov_b32_e32 v1, s1
	v_mov_b32_e32 v2, s0
	flat_load_dwordx4 v[1:4], v[1:2]
	s_waitcnt vmcnt(0) lgkmcnt(0)
	v_cmp_eq_f64_e32 vcc, 0, v[5:6]
	v_cmp_eq_f64_e64 s[0:1], 0, v[7:8]
	s_and_b64 s[8:9], vcc, s[0:1]
	s_mov_b64 s[0:1], -1
	s_and_saveexec_b64 s[2:3], s[8:9]
	s_cbranch_execz .LBB114_2
; %bb.1:
	v_cmp_neq_f64_e32 vcc, 1.0, v[1:2]
	v_cmp_neq_f64_e64 s[0:1], 0, v[3:4]
	s_or_b64 s[0:1], vcc, s[0:1]
	s_orn2_b64 s[0:1], s[0:1], exec
.LBB114_2:
	s_or_b64 exec, exec, s[2:3]
	s_and_saveexec_b64 s[2:3], s[0:1]
	s_cbranch_execz .LBB114_33
; %bb.3:
	s_load_dwordx2 s[0:1], s[4:5], 0x18
	s_load_dword s2, s[4:5], 0x4
	v_mul_u32_u24_e32 v10, 0x5556, v0
	v_mov_b32_e32 v9, 3
	v_mul_lo_u16_sdwa v10, v10, v9 dst_sel:DWORD dst_unused:UNUSED_PAD src0_sel:WORD_1 src1_sel:DWORD
	v_sub_u16_e32 v18, v0, v10
	s_waitcnt lgkmcnt(0)
	s_cmp_lg_u32 s2, 1
	s_cselect_b64 s[12:13], -1, 0
	s_and_b64 vcc, exec, s[12:13]
	v_mov_b32_e32 v13, v18
	s_cbranch_vccnz .LBB114_5
; %bb.4:
	s_movk_i32 s2, 0x199a
	v_mul_u32_u24_sdwa v10, v0, s2 dst_sel:DWORD dst_unused:UNUSED_PAD src0_sel:WORD_0 src1_sel:DWORD
	s_movk_i32 s2, 0x56
	v_mul_lo_u16_sdwa v11, v10, s2 dst_sel:DWORD dst_unused:UNUSED_PAD src0_sel:WORD_1 src1_sel:DWORD
	v_mul_lo_u16_sdwa v9, v11, v9 dst_sel:DWORD dst_unused:UNUSED_PAD src0_sel:BYTE_1 src1_sel:DWORD
	v_sub_u16_sdwa v9, v10, v9 dst_sel:DWORD dst_unused:UNUSED_PAD src0_sel:WORD_1 src1_sel:DWORD
	v_and_b32_e32 v13, 0xff, v9
.LBB114_5:
	s_ashr_i32 s7, s6, 31
	s_lshl_b64 s[2:3], s[6:7], 2
	s_add_u32 s0, s0, s2
	s_addc_u32 s1, s1, s3
	s_load_dwordx2 s[16:17], s[0:1], 0x0
	s_load_dwordx2 s[8:9], s[4:5], 0x50
	v_mov_b32_e32 v11, 0
	v_mov_b32_e32 v9, 0
	;; [unrolled: 1-line block ×3, first 2 shown]
	s_waitcnt lgkmcnt(0)
	s_cmp_ge_i32 s16, s17
	v_mov_b32_e32 v10, 0
	s_cbranch_scc1 .LBB114_10
; %bb.6:
	s_load_dwordx4 s[0:3], s[4:5], 0x20
	s_load_dwordx2 s[14:15], s[4:5], 0x38
	v_mad_u64_u32 v[9:10], s[4:5], s16, 30, v[0:1]
	s_movk_i32 s4, 0x889
	v_mul_u32_u24_sdwa v19, v0, s4 dst_sel:DWORD dst_unused:UNUSED_PAD src0_sel:WORD_0 src1_sel:DWORD
	s_mul_i32 s4, s10, 30
	v_mov_b32_e32 v11, 0
	v_subrev_u32_e32 v14, s4, v9
	v_mov_b32_e32 v12, 0
	v_mov_b32_e32 v9, v11
	s_sub_i32 s7, s17, s10
	s_sub_i32 s11, s16, s10
	v_mov_b32_e32 v15, 0
	v_mov_b32_e32 v10, v12
	s_branch .LBB114_8
.LBB114_7:                              ;   in Loop: Header=BB114_8 Depth=1
	s_or_b64 exec, exec, s[4:5]
	s_add_i32 s11, s11, 2
	s_cmp_ge_i32 s11, s7
	v_add_u32_e32 v14, 60, v14
	s_cbranch_scc1 .LBB114_10
.LBB114_8:                              ; =>This Inner Loop Header: Depth=1
	v_add_u32_sdwa v16, v19, s11 dst_sel:DWORD dst_unused:UNUSED_PAD src0_sel:WORD_1 src1_sel:DWORD
	v_cmp_gt_i32_e32 vcc, s7, v16
	s_and_saveexec_b64 s[4:5], vcc
	s_cbranch_execz .LBB114_7
; %bb.9:                                ;   in Loop: Header=BB114_8 Depth=1
	v_ashrrev_i32_e32 v17, 31, v16
	v_lshlrev_b64 v[16:17], 2, v[16:17]
	s_waitcnt lgkmcnt(0)
	v_mov_b32_e32 v20, s1
	v_add_co_u32_e32 v16, vcc, s0, v16
	v_addc_co_u32_e32 v17, vcc, v20, v17, vcc
	global_load_dword v20, v[16:17], off
	v_lshlrev_b64 v[16:17], 4, v[14:15]
	v_mov_b32_e32 v21, s3
	v_add_co_u32_e32 v16, vcc, s2, v16
	v_addc_co_u32_e32 v17, vcc, v21, v17, vcc
	v_mov_b32_e32 v26, s15
	s_waitcnt vmcnt(0)
	v_subrev_u32_e32 v20, s10, v20
	v_mad_u64_u32 v[24:25], s[16:17], v20, 3, v[13:14]
	global_load_dwordx4 v[20:23], v[16:17], off
	v_ashrrev_i32_e32 v25, 31, v24
	v_lshlrev_b64 v[16:17], 4, v[24:25]
	v_add_co_u32_e32 v16, vcc, s14, v16
	v_addc_co_u32_e32 v17, vcc, v26, v17, vcc
	global_load_dwordx4 v[24:27], v[16:17], off
	s_waitcnt vmcnt(0)
	v_fma_f64 v[9:10], v[20:21], v[24:25], v[9:10]
	v_fma_f64 v[11:12], v[22:23], v[24:25], v[11:12]
	v_fma_f64 v[9:10], -v[22:23], v[26:27], v[9:10]
	v_fma_f64 v[11:12], v[20:21], v[26:27], v[11:12]
	s_branch .LBB114_7
.LBB114_10:
	v_lshlrev_b32_e32 v17, 4, v0
	v_cmp_gt_u32_e32 vcc, 30, v0
	ds_write_b128 v17, v[9:12]
	s_waitcnt lgkmcnt(0)
	; wave barrier
	s_and_saveexec_b64 s[0:1], vcc
	s_cbranch_execz .LBB114_12
; %bb.11:
	ds_read_b128 v[13:16], v17 offset:480
	ds_read_b128 v[19:22], v17
	s_waitcnt lgkmcnt(0)
	v_add_f64 v[13:14], v[13:14], v[19:20]
	v_add_f64 v[15:16], v[15:16], v[21:22]
	ds_write_b128 v17, v[13:16]
.LBB114_12:
	s_or_b64 exec, exec, s[0:1]
	s_and_b64 vcc, exec, s[12:13]
	s_waitcnt lgkmcnt(0)
	; wave barrier
	s_cbranch_vccz .LBB114_20
; %bb.13:
	v_cmp_eq_u16_e32 vcc, 0, v18
	s_and_saveexec_b64 s[0:1], vcc
	s_cbranch_execz .LBB114_15
; %bb.14:
	ds_read_b128 v[13:16], v17
	ds_read_b128 v[18:21], v17 offset:32
	s_waitcnt lgkmcnt(0)
	v_add_f64 v[13:14], v[18:19], v[13:14]
	v_add_f64 v[15:16], v[20:21], v[15:16]
	ds_write_b128 v17, v[13:16]
.LBB114_15:
	s_or_b64 exec, exec, s[0:1]
	s_waitcnt lgkmcnt(0)
	; wave barrier
	s_and_saveexec_b64 s[0:1], vcc
	s_cbranch_execz .LBB114_17
; %bb.16:
	ds_read_b128 v[13:16], v17
	ds_read_b128 v[18:21], v17 offset:16
	s_waitcnt lgkmcnt(0)
	v_add_f64 v[13:14], v[18:19], v[13:14]
	v_add_f64 v[15:16], v[20:21], v[15:16]
	ds_write_b128 v17, v[13:16]
.LBB114_17:
	s_or_b64 exec, exec, s[0:1]
	v_mov_b32_e32 v16, v12
	v_mov_b32_e32 v14, v10
	v_cmp_gt_u32_e32 vcc, 10, v0
	v_mov_b32_e32 v15, v11
	v_mov_b32_e32 v13, v9
	s_waitcnt lgkmcnt(0)
	; wave barrier
	s_and_saveexec_b64 s[0:1], vcc
; %bb.18:
	v_lshl_add_u32 v13, v0, 5, v17
	ds_read_b128 v[13:16], v13
; %bb.19:
	s_or_b64 exec, exec, s[0:1]
	v_cmp_gt_u32_e64 s[0:1], 10, v0
	s_branch .LBB114_28
.LBB114_20:
                                        ; implicit-def: $vgpr15_vgpr16
	v_cmp_gt_u32_e64 s[0:1], 10, v0
	s_cbranch_execz .LBB114_28
; %bb.21:
	v_cmp_lt_u32_e32 vcc, 9, v0
	s_and_saveexec_b64 s[2:3], s[0:1]
	s_cbranch_execz .LBB114_23
; %bb.22:
	s_waitcnt lgkmcnt(0)
	ds_read_b128 v[13:16], v17 offset:320
	ds_read_b128 v[18:21], v17
	s_waitcnt lgkmcnt(0)
	v_add_f64 v[13:14], v[13:14], v[18:19]
	v_add_f64 v[15:16], v[15:16], v[20:21]
	ds_write_b128 v17, v[13:16]
.LBB114_23:
	s_or_b64 exec, exec, s[2:3]
	s_waitcnt lgkmcnt(0)
	; wave barrier
	s_and_saveexec_b64 s[0:1], vcc
	s_xor_b64 s[0:1], exec, s[0:1]
; %bb.24:
                                        ; implicit-def: $vgpr17
; %bb.25:
	s_andn2_saveexec_b64 s[0:1], s[0:1]
	s_cbranch_execz .LBB114_27
; %bb.26:
	ds_read_b128 v[9:12], v17 offset:160
	ds_read_b128 v[13:16], v17
	s_waitcnt lgkmcnt(0)
	v_add_f64 v[9:10], v[9:10], v[13:14]
	v_add_f64 v[11:12], v[11:12], v[15:16]
	ds_write_b128 v17, v[9:12]
	s_waitcnt lgkmcnt(0)
	ds_read_b128 v[9:12], v17
.LBB114_27:
	s_or_b64 exec, exec, s[0:1]
	s_waitcnt lgkmcnt(0)
	v_mov_b32_e32 v16, v12
	v_mov_b32_e32 v14, v10
	;; [unrolled: 1-line block ×4, first 2 shown]
.LBB114_28:
	v_cmp_gt_u32_e32 vcc, 10, v0
	s_and_b64 exec, exec, vcc
	s_cbranch_execz .LBB114_33
; %bb.29:
	s_waitcnt lgkmcnt(0)
	v_mul_f64 v[9:10], v[15:16], -v[7:8]
	v_mul_f64 v[11:12], v[5:6], v[15:16]
	v_cmp_eq_f64_e32 vcc, 0, v[1:2]
	v_cmp_eq_f64_e64 s[0:1], 0, v[3:4]
	v_fma_f64 v[5:6], v[5:6], v[13:14], v[9:10]
	v_fma_f64 v[7:8], v[7:8], v[13:14], v[11:12]
	s_and_b64 s[0:1], vcc, s[0:1]
	s_and_saveexec_b64 s[2:3], s[0:1]
	s_xor_b64 s[0:1], exec, s[2:3]
	s_cbranch_execz .LBB114_31
; %bb.30:
	v_mad_u64_u32 v[0:1], s[2:3], s6, 10, v[0:1]
	v_mov_b32_e32 v1, 0
	v_mov_b32_e32 v2, s9
	v_lshlrev_b64 v[0:1], 4, v[0:1]
	v_add_co_u32_e32 v0, vcc, s8, v0
	v_addc_co_u32_e32 v1, vcc, v2, v1, vcc
	global_store_dwordx4 v[0:1], v[5:8], off
                                        ; implicit-def: $vgpr0
                                        ; implicit-def: $vgpr1_vgpr2
                                        ; implicit-def: $vgpr5_vgpr6
.LBB114_31:
	s_andn2_saveexec_b64 s[0:1], s[0:1]
	s_cbranch_execz .LBB114_33
; %bb.32:
	v_mad_u64_u32 v[9:10], s[0:1], s6, 10, v[0:1]
	v_mov_b32_e32 v10, 0
	v_mov_b32_e32 v0, s9
	v_lshlrev_b64 v[9:10], 4, v[9:10]
	v_add_co_u32_e32 v13, vcc, s8, v9
	v_addc_co_u32_e32 v14, vcc, v0, v10, vcc
	global_load_dwordx4 v[9:12], v[13:14], off
	s_waitcnt vmcnt(0)
	v_fma_f64 v[5:6], v[1:2], v[9:10], v[5:6]
	v_fma_f64 v[7:8], v[3:4], v[9:10], v[7:8]
	v_fma_f64 v[3:4], -v[3:4], v[11:12], v[5:6]
	v_fma_f64 v[5:6], v[1:2], v[11:12], v[7:8]
	global_store_dwordx4 v[13:14], v[3:6], off
.LBB114_33:
	s_endpgm
	.section	.rodata,"a",@progbits
	.p2align	6, 0x0
	.amdhsa_kernel _ZN9rocsparseL22gebsrmvn_mxn_16_kernelILj60ELj10ELj3E21rocsparse_complex_numIdEEEvi20rocsparse_direction_NS_24const_host_device_scalarIT2_EEPKiS8_PKS5_iiSA_S6_PS5_21rocsparse_index_base_b
		.amdhsa_group_segment_fixed_size 960
		.amdhsa_private_segment_fixed_size 0
		.amdhsa_kernarg_size 96
		.amdhsa_user_sgpr_count 6
		.amdhsa_user_sgpr_private_segment_buffer 1
		.amdhsa_user_sgpr_dispatch_ptr 0
		.amdhsa_user_sgpr_queue_ptr 0
		.amdhsa_user_sgpr_kernarg_segment_ptr 1
		.amdhsa_user_sgpr_dispatch_id 0
		.amdhsa_user_sgpr_flat_scratch_init 0
		.amdhsa_user_sgpr_private_segment_size 0
		.amdhsa_uses_dynamic_stack 0
		.amdhsa_system_sgpr_private_segment_wavefront_offset 0
		.amdhsa_system_sgpr_workgroup_id_x 1
		.amdhsa_system_sgpr_workgroup_id_y 0
		.amdhsa_system_sgpr_workgroup_id_z 0
		.amdhsa_system_sgpr_workgroup_info 0
		.amdhsa_system_vgpr_workitem_id 0
		.amdhsa_next_free_vgpr 28
		.amdhsa_next_free_sgpr 18
		.amdhsa_reserve_vcc 1
		.amdhsa_reserve_flat_scratch 0
		.amdhsa_float_round_mode_32 0
		.amdhsa_float_round_mode_16_64 0
		.amdhsa_float_denorm_mode_32 3
		.amdhsa_float_denorm_mode_16_64 3
		.amdhsa_dx10_clamp 1
		.amdhsa_ieee_mode 1
		.amdhsa_fp16_overflow 0
		.amdhsa_exception_fp_ieee_invalid_op 0
		.amdhsa_exception_fp_denorm_src 0
		.amdhsa_exception_fp_ieee_div_zero 0
		.amdhsa_exception_fp_ieee_overflow 0
		.amdhsa_exception_fp_ieee_underflow 0
		.amdhsa_exception_fp_ieee_inexact 0
		.amdhsa_exception_int_div_zero 0
	.end_amdhsa_kernel
	.section	.text._ZN9rocsparseL22gebsrmvn_mxn_16_kernelILj60ELj10ELj3E21rocsparse_complex_numIdEEEvi20rocsparse_direction_NS_24const_host_device_scalarIT2_EEPKiS8_PKS5_iiSA_S6_PS5_21rocsparse_index_base_b,"axG",@progbits,_ZN9rocsparseL22gebsrmvn_mxn_16_kernelILj60ELj10ELj3E21rocsparse_complex_numIdEEEvi20rocsparse_direction_NS_24const_host_device_scalarIT2_EEPKiS8_PKS5_iiSA_S6_PS5_21rocsparse_index_base_b,comdat
.Lfunc_end114:
	.size	_ZN9rocsparseL22gebsrmvn_mxn_16_kernelILj60ELj10ELj3E21rocsparse_complex_numIdEEEvi20rocsparse_direction_NS_24const_host_device_scalarIT2_EEPKiS8_PKS5_iiSA_S6_PS5_21rocsparse_index_base_b, .Lfunc_end114-_ZN9rocsparseL22gebsrmvn_mxn_16_kernelILj60ELj10ELj3E21rocsparse_complex_numIdEEEvi20rocsparse_direction_NS_24const_host_device_scalarIT2_EEPKiS8_PKS5_iiSA_S6_PS5_21rocsparse_index_base_b
                                        ; -- End function
	.set _ZN9rocsparseL22gebsrmvn_mxn_16_kernelILj60ELj10ELj3E21rocsparse_complex_numIdEEEvi20rocsparse_direction_NS_24const_host_device_scalarIT2_EEPKiS8_PKS5_iiSA_S6_PS5_21rocsparse_index_base_b.num_vgpr, 28
	.set _ZN9rocsparseL22gebsrmvn_mxn_16_kernelILj60ELj10ELj3E21rocsparse_complex_numIdEEEvi20rocsparse_direction_NS_24const_host_device_scalarIT2_EEPKiS8_PKS5_iiSA_S6_PS5_21rocsparse_index_base_b.num_agpr, 0
	.set _ZN9rocsparseL22gebsrmvn_mxn_16_kernelILj60ELj10ELj3E21rocsparse_complex_numIdEEEvi20rocsparse_direction_NS_24const_host_device_scalarIT2_EEPKiS8_PKS5_iiSA_S6_PS5_21rocsparse_index_base_b.numbered_sgpr, 18
	.set _ZN9rocsparseL22gebsrmvn_mxn_16_kernelILj60ELj10ELj3E21rocsparse_complex_numIdEEEvi20rocsparse_direction_NS_24const_host_device_scalarIT2_EEPKiS8_PKS5_iiSA_S6_PS5_21rocsparse_index_base_b.num_named_barrier, 0
	.set _ZN9rocsparseL22gebsrmvn_mxn_16_kernelILj60ELj10ELj3E21rocsparse_complex_numIdEEEvi20rocsparse_direction_NS_24const_host_device_scalarIT2_EEPKiS8_PKS5_iiSA_S6_PS5_21rocsparse_index_base_b.private_seg_size, 0
	.set _ZN9rocsparseL22gebsrmvn_mxn_16_kernelILj60ELj10ELj3E21rocsparse_complex_numIdEEEvi20rocsparse_direction_NS_24const_host_device_scalarIT2_EEPKiS8_PKS5_iiSA_S6_PS5_21rocsparse_index_base_b.uses_vcc, 1
	.set _ZN9rocsparseL22gebsrmvn_mxn_16_kernelILj60ELj10ELj3E21rocsparse_complex_numIdEEEvi20rocsparse_direction_NS_24const_host_device_scalarIT2_EEPKiS8_PKS5_iiSA_S6_PS5_21rocsparse_index_base_b.uses_flat_scratch, 0
	.set _ZN9rocsparseL22gebsrmvn_mxn_16_kernelILj60ELj10ELj3E21rocsparse_complex_numIdEEEvi20rocsparse_direction_NS_24const_host_device_scalarIT2_EEPKiS8_PKS5_iiSA_S6_PS5_21rocsparse_index_base_b.has_dyn_sized_stack, 0
	.set _ZN9rocsparseL22gebsrmvn_mxn_16_kernelILj60ELj10ELj3E21rocsparse_complex_numIdEEEvi20rocsparse_direction_NS_24const_host_device_scalarIT2_EEPKiS8_PKS5_iiSA_S6_PS5_21rocsparse_index_base_b.has_recursion, 0
	.set _ZN9rocsparseL22gebsrmvn_mxn_16_kernelILj60ELj10ELj3E21rocsparse_complex_numIdEEEvi20rocsparse_direction_NS_24const_host_device_scalarIT2_EEPKiS8_PKS5_iiSA_S6_PS5_21rocsparse_index_base_b.has_indirect_call, 0
	.section	.AMDGPU.csdata,"",@progbits
; Kernel info:
; codeLenInByte = 1256
; TotalNumSgprs: 22
; NumVgprs: 28
; ScratchSize: 0
; MemoryBound: 0
; FloatMode: 240
; IeeeMode: 1
; LDSByteSize: 960 bytes/workgroup (compile time only)
; SGPRBlocks: 2
; VGPRBlocks: 6
; NumSGPRsForWavesPerEU: 22
; NumVGPRsForWavesPerEU: 28
; Occupancy: 9
; WaveLimiterHint : 1
; COMPUTE_PGM_RSRC2:SCRATCH_EN: 0
; COMPUTE_PGM_RSRC2:USER_SGPR: 6
; COMPUTE_PGM_RSRC2:TRAP_HANDLER: 0
; COMPUTE_PGM_RSRC2:TGID_X_EN: 1
; COMPUTE_PGM_RSRC2:TGID_Y_EN: 0
; COMPUTE_PGM_RSRC2:TGID_Z_EN: 0
; COMPUTE_PGM_RSRC2:TIDIG_COMP_CNT: 0
	.section	.text._ZN9rocsparseL22gebsrmvn_mxn_16_kernelILj40ELj10ELj4E21rocsparse_complex_numIdEEEvi20rocsparse_direction_NS_24const_host_device_scalarIT2_EEPKiS8_PKS5_iiSA_S6_PS5_21rocsparse_index_base_b,"axG",@progbits,_ZN9rocsparseL22gebsrmvn_mxn_16_kernelILj40ELj10ELj4E21rocsparse_complex_numIdEEEvi20rocsparse_direction_NS_24const_host_device_scalarIT2_EEPKiS8_PKS5_iiSA_S6_PS5_21rocsparse_index_base_b,comdat
	.globl	_ZN9rocsparseL22gebsrmvn_mxn_16_kernelILj40ELj10ELj4E21rocsparse_complex_numIdEEEvi20rocsparse_direction_NS_24const_host_device_scalarIT2_EEPKiS8_PKS5_iiSA_S6_PS5_21rocsparse_index_base_b ; -- Begin function _ZN9rocsparseL22gebsrmvn_mxn_16_kernelILj40ELj10ELj4E21rocsparse_complex_numIdEEEvi20rocsparse_direction_NS_24const_host_device_scalarIT2_EEPKiS8_PKS5_iiSA_S6_PS5_21rocsparse_index_base_b
	.p2align	8
	.type	_ZN9rocsparseL22gebsrmvn_mxn_16_kernelILj40ELj10ELj4E21rocsparse_complex_numIdEEEvi20rocsparse_direction_NS_24const_host_device_scalarIT2_EEPKiS8_PKS5_iiSA_S6_PS5_21rocsparse_index_base_b,@function
_ZN9rocsparseL22gebsrmvn_mxn_16_kernelILj40ELj10ELj4E21rocsparse_complex_numIdEEEvi20rocsparse_direction_NS_24const_host_device_scalarIT2_EEPKiS8_PKS5_iiSA_S6_PS5_21rocsparse_index_base_b: ; @_ZN9rocsparseL22gebsrmvn_mxn_16_kernelILj40ELj10ELj4E21rocsparse_complex_numIdEEEvi20rocsparse_direction_NS_24const_host_device_scalarIT2_EEPKiS8_PKS5_iiSA_S6_PS5_21rocsparse_index_base_b
; %bb.0:
	s_load_dwordx2 s[0:1], s[4:5], 0x8
	s_load_dwordx2 s[2:3], s[4:5], 0x40
	;; [unrolled: 1-line block ×3, first 2 shown]
	s_add_u32 s7, s4, 8
	s_addc_u32 s8, s5, 0
	s_add_u32 s9, s4, 64
	s_addc_u32 s12, s5, 0
	s_waitcnt lgkmcnt(0)
	s_bitcmp1_b32 s11, 0
	s_cselect_b32 s1, s8, s1
	s_cselect_b32 s0, s7, s0
	v_mov_b32_e32 v1, s0
	v_mov_b32_e32 v2, s1
	flat_load_dwordx4 v[5:8], v[1:2]
	s_cselect_b32 s0, s12, s3
	s_cselect_b32 s1, s9, s2
	v_mov_b32_e32 v1, s1
	v_mov_b32_e32 v2, s0
	flat_load_dwordx4 v[1:4], v[1:2]
	s_waitcnt vmcnt(0) lgkmcnt(0)
	v_cmp_eq_f64_e32 vcc, 0, v[5:6]
	v_cmp_eq_f64_e64 s[0:1], 0, v[7:8]
	s_and_b64 s[8:9], vcc, s[0:1]
	s_mov_b64 s[0:1], -1
	s_and_saveexec_b64 s[2:3], s[8:9]
	s_cbranch_execz .LBB115_2
; %bb.1:
	v_cmp_neq_f64_e32 vcc, 1.0, v[1:2]
	v_cmp_neq_f64_e64 s[0:1], 0, v[3:4]
	s_or_b64 s[0:1], vcc, s[0:1]
	s_orn2_b64 s[0:1], s[0:1], exec
.LBB115_2:
	s_or_b64 exec, exec, s[2:3]
	s_and_saveexec_b64 s[2:3], s[0:1]
	s_cbranch_execz .LBB115_31
; %bb.3:
	s_load_dword s2, s[4:5], 0x4
	s_load_dwordx2 s[0:1], s[4:5], 0x18
	v_and_b32_e32 v17, 3, v0
	v_mov_b32_e32 v18, v17
	s_waitcnt lgkmcnt(0)
	s_cmp_lg_u32 s2, 1
	s_cselect_b64 s[12:13], -1, 0
	s_and_b64 vcc, exec, s[12:13]
	s_cbranch_vccnz .LBB115_5
; %bb.4:
	v_mul_u32_u24_e32 v9, 0x199a, v0
	v_bfe_u32 v18, v9, 16, 2
.LBB115_5:
	s_ashr_i32 s7, s6, 31
	s_lshl_b64 s[2:3], s[6:7], 2
	s_add_u32 s0, s0, s2
	s_addc_u32 s1, s1, s3
	s_load_dwordx2 s[16:17], s[0:1], 0x0
	s_load_dwordx2 s[8:9], s[4:5], 0x50
	v_mov_b32_e32 v11, 0
	v_mov_b32_e32 v9, 0
	;; [unrolled: 1-line block ×3, first 2 shown]
	s_waitcnt lgkmcnt(0)
	s_cmp_ge_i32 s16, s17
	v_mov_b32_e32 v10, 0
	s_cbranch_scc1 .LBB115_10
; %bb.6:
	s_load_dwordx4 s[0:3], s[4:5], 0x20
	s_load_dwordx2 s[14:15], s[4:5], 0x38
	v_mad_u64_u32 v[9:10], s[4:5], s16, 40, v[0:1]
	s_mul_i32 s4, s10, 40
	v_mov_b32_e32 v11, 0
	v_subrev_u32_e32 v13, s4, v9
	v_mov_b32_e32 v12, 0
	v_mov_b32_e32 v9, v11
	s_sub_i32 s7, s17, s10
	s_sub_i32 s11, s16, s10
	v_mul_u32_u24_e32 v19, 0x667, v0
	v_mov_b32_e32 v14, 0
	v_mov_b32_e32 v10, v12
	s_branch .LBB115_8
.LBB115_7:                              ;   in Loop: Header=BB115_8 Depth=1
	s_or_b64 exec, exec, s[4:5]
	s_add_i32 s11, s11, 1
	s_cmp_ge_i32 s11, s7
	v_add_u32_e32 v13, 40, v13
	s_cbranch_scc1 .LBB115_10
.LBB115_8:                              ; =>This Inner Loop Header: Depth=1
	v_add_u32_sdwa v15, v19, s11 dst_sel:DWORD dst_unused:UNUSED_PAD src0_sel:WORD_1 src1_sel:DWORD
	v_cmp_gt_i32_e32 vcc, s7, v15
	s_and_saveexec_b64 s[4:5], vcc
	s_cbranch_execz .LBB115_7
; %bb.9:                                ;   in Loop: Header=BB115_8 Depth=1
	v_ashrrev_i32_e32 v16, 31, v15
	v_lshlrev_b64 v[15:16], 2, v[15:16]
	s_waitcnt lgkmcnt(0)
	v_mov_b32_e32 v20, s1
	v_add_co_u32_e32 v15, vcc, s0, v15
	v_addc_co_u32_e32 v16, vcc, v20, v16, vcc
	global_load_dword v24, v[15:16], off
	v_lshlrev_b64 v[15:16], 4, v[13:14]
	v_mov_b32_e32 v20, s3
	v_add_co_u32_e32 v15, vcc, s2, v15
	v_addc_co_u32_e32 v16, vcc, v20, v16, vcc
	global_load_dwordx4 v[20:23], v[15:16], off
	v_mov_b32_e32 v25, s15
	s_waitcnt vmcnt(1)
	v_subrev_u32_e32 v15, s10, v24
	v_lshl_or_b32 v15, v15, 2, v18
	v_ashrrev_i32_e32 v16, 31, v15
	v_lshlrev_b64 v[15:16], 4, v[15:16]
	v_add_co_u32_e32 v15, vcc, s14, v15
	v_addc_co_u32_e32 v16, vcc, v25, v16, vcc
	global_load_dwordx4 v[24:27], v[15:16], off
	s_waitcnt vmcnt(0)
	v_fma_f64 v[9:10], v[20:21], v[24:25], v[9:10]
	v_fma_f64 v[11:12], v[22:23], v[24:25], v[11:12]
	v_fma_f64 v[9:10], -v[22:23], v[26:27], v[9:10]
	v_fma_f64 v[11:12], v[20:21], v[26:27], v[11:12]
	s_branch .LBB115_7
.LBB115_10:
	v_lshlrev_b32_e32 v18, 4, v0
	s_and_b64 vcc, exec, s[12:13]
	ds_write_b128 v18, v[9:12]
	s_waitcnt lgkmcnt(0)
	; wave barrier
	s_cbranch_vccz .LBB115_18
; %bb.11:
	v_cmp_gt_u32_e32 vcc, 2, v17
	s_and_saveexec_b64 s[0:1], vcc
	s_cbranch_execz .LBB115_13
; %bb.12:
	ds_read_b128 v[13:16], v18
	ds_read_b128 v[19:22], v18 offset:32
	s_waitcnt lgkmcnt(0)
	v_add_f64 v[13:14], v[19:20], v[13:14]
	v_add_f64 v[15:16], v[21:22], v[15:16]
	ds_write_b128 v18, v[13:16]
.LBB115_13:
	s_or_b64 exec, exec, s[0:1]
	v_cmp_eq_u32_e32 vcc, 0, v17
	s_waitcnt lgkmcnt(0)
	; wave barrier
	s_and_saveexec_b64 s[0:1], vcc
	s_cbranch_execz .LBB115_15
; %bb.14:
	ds_read_b128 v[13:16], v18
	ds_read_b128 v[19:22], v18 offset:16
	s_waitcnt lgkmcnt(0)
	v_add_f64 v[13:14], v[19:20], v[13:14]
	v_add_f64 v[15:16], v[21:22], v[15:16]
	ds_write_b128 v18, v[13:16]
.LBB115_15:
	s_or_b64 exec, exec, s[0:1]
	v_mov_b32_e32 v16, v12
	v_mov_b32_e32 v14, v10
	v_cmp_gt_u32_e32 vcc, 10, v0
	v_mov_b32_e32 v15, v11
	v_mov_b32_e32 v13, v9
	s_waitcnt lgkmcnt(0)
	; wave barrier
	s_and_saveexec_b64 s[0:1], vcc
; %bb.16:
	v_mad_u32_u24 v13, v0, 48, v18
	ds_read_b128 v[13:16], v13
; %bb.17:
	s_or_b64 exec, exec, s[0:1]
	s_branch .LBB115_26
.LBB115_18:
                                        ; implicit-def: $vgpr15_vgpr16
	s_cbranch_execz .LBB115_26
; %bb.19:
	v_cmp_gt_u32_e32 vcc, 20, v0
	s_and_saveexec_b64 s[0:1], vcc
	s_cbranch_execz .LBB115_21
; %bb.20:
	s_waitcnt lgkmcnt(0)
	ds_read_b128 v[13:16], v18 offset:320
	ds_read_b128 v[19:22], v18
	s_waitcnt lgkmcnt(0)
	v_add_f64 v[13:14], v[13:14], v[19:20]
	v_add_f64 v[15:16], v[15:16], v[21:22]
	ds_write_b128 v18, v[13:16]
.LBB115_21:
	s_or_b64 exec, exec, s[0:1]
	v_cmp_lt_u32_e32 vcc, 9, v0
	s_waitcnt lgkmcnt(0)
	s_and_saveexec_b64 s[0:1], vcc
	s_xor_b64 s[0:1], exec, s[0:1]
; %bb.22:
                                        ; implicit-def: $vgpr18
; %bb.23:
	s_andn2_saveexec_b64 s[0:1], s[0:1]
	s_cbranch_execz .LBB115_25
; %bb.24:
	ds_read_b128 v[9:12], v18 offset:160
	ds_read_b128 v[13:16], v18
	s_waitcnt lgkmcnt(0)
	v_add_f64 v[9:10], v[9:10], v[13:14]
	v_add_f64 v[11:12], v[11:12], v[15:16]
	ds_write_b128 v18, v[9:12]
	s_waitcnt lgkmcnt(0)
	ds_read_b128 v[9:12], v18
.LBB115_25:
	s_or_b64 exec, exec, s[0:1]
	s_waitcnt lgkmcnt(0)
	v_mov_b32_e32 v16, v12
	v_mov_b32_e32 v14, v10
	v_mov_b32_e32 v15, v11
	v_mov_b32_e32 v13, v9
.LBB115_26:
	v_cmp_gt_u32_e32 vcc, 10, v0
	s_and_b64 exec, exec, vcc
	s_cbranch_execz .LBB115_31
; %bb.27:
	s_waitcnt lgkmcnt(0)
	v_mul_f64 v[9:10], v[15:16], -v[7:8]
	v_mul_f64 v[11:12], v[5:6], v[15:16]
	v_cmp_eq_f64_e32 vcc, 0, v[1:2]
	v_cmp_eq_f64_e64 s[0:1], 0, v[3:4]
	v_fma_f64 v[5:6], v[5:6], v[13:14], v[9:10]
	v_fma_f64 v[7:8], v[7:8], v[13:14], v[11:12]
	s_and_b64 s[0:1], vcc, s[0:1]
	s_and_saveexec_b64 s[2:3], s[0:1]
	s_xor_b64 s[0:1], exec, s[2:3]
	s_cbranch_execz .LBB115_29
; %bb.28:
	v_mad_u64_u32 v[0:1], s[2:3], s6, 10, v[0:1]
	v_mov_b32_e32 v1, 0
	v_mov_b32_e32 v2, s9
	v_lshlrev_b64 v[0:1], 4, v[0:1]
	v_add_co_u32_e32 v0, vcc, s8, v0
	v_addc_co_u32_e32 v1, vcc, v2, v1, vcc
	global_store_dwordx4 v[0:1], v[5:8], off
                                        ; implicit-def: $vgpr0
                                        ; implicit-def: $vgpr1_vgpr2
                                        ; implicit-def: $vgpr5_vgpr6
.LBB115_29:
	s_andn2_saveexec_b64 s[0:1], s[0:1]
	s_cbranch_execz .LBB115_31
; %bb.30:
	v_mad_u64_u32 v[9:10], s[0:1], s6, 10, v[0:1]
	v_mov_b32_e32 v10, 0
	v_mov_b32_e32 v0, s9
	v_lshlrev_b64 v[9:10], 4, v[9:10]
	v_add_co_u32_e32 v13, vcc, s8, v9
	v_addc_co_u32_e32 v14, vcc, v0, v10, vcc
	global_load_dwordx4 v[9:12], v[13:14], off
	s_waitcnt vmcnt(0)
	v_fma_f64 v[5:6], v[1:2], v[9:10], v[5:6]
	v_fma_f64 v[7:8], v[3:4], v[9:10], v[7:8]
	v_fma_f64 v[3:4], -v[3:4], v[11:12], v[5:6]
	v_fma_f64 v[5:6], v[1:2], v[11:12], v[7:8]
	global_store_dwordx4 v[13:14], v[3:6], off
.LBB115_31:
	s_endpgm
	.section	.rodata,"a",@progbits
	.p2align	6, 0x0
	.amdhsa_kernel _ZN9rocsparseL22gebsrmvn_mxn_16_kernelILj40ELj10ELj4E21rocsparse_complex_numIdEEEvi20rocsparse_direction_NS_24const_host_device_scalarIT2_EEPKiS8_PKS5_iiSA_S6_PS5_21rocsparse_index_base_b
		.amdhsa_group_segment_fixed_size 640
		.amdhsa_private_segment_fixed_size 0
		.amdhsa_kernarg_size 96
		.amdhsa_user_sgpr_count 6
		.amdhsa_user_sgpr_private_segment_buffer 1
		.amdhsa_user_sgpr_dispatch_ptr 0
		.amdhsa_user_sgpr_queue_ptr 0
		.amdhsa_user_sgpr_kernarg_segment_ptr 1
		.amdhsa_user_sgpr_dispatch_id 0
		.amdhsa_user_sgpr_flat_scratch_init 0
		.amdhsa_user_sgpr_private_segment_size 0
		.amdhsa_uses_dynamic_stack 0
		.amdhsa_system_sgpr_private_segment_wavefront_offset 0
		.amdhsa_system_sgpr_workgroup_id_x 1
		.amdhsa_system_sgpr_workgroup_id_y 0
		.amdhsa_system_sgpr_workgroup_id_z 0
		.amdhsa_system_sgpr_workgroup_info 0
		.amdhsa_system_vgpr_workitem_id 0
		.amdhsa_next_free_vgpr 28
		.amdhsa_next_free_sgpr 18
		.amdhsa_reserve_vcc 1
		.amdhsa_reserve_flat_scratch 0
		.amdhsa_float_round_mode_32 0
		.amdhsa_float_round_mode_16_64 0
		.amdhsa_float_denorm_mode_32 3
		.amdhsa_float_denorm_mode_16_64 3
		.amdhsa_dx10_clamp 1
		.amdhsa_ieee_mode 1
		.amdhsa_fp16_overflow 0
		.amdhsa_exception_fp_ieee_invalid_op 0
		.amdhsa_exception_fp_denorm_src 0
		.amdhsa_exception_fp_ieee_div_zero 0
		.amdhsa_exception_fp_ieee_overflow 0
		.amdhsa_exception_fp_ieee_underflow 0
		.amdhsa_exception_fp_ieee_inexact 0
		.amdhsa_exception_int_div_zero 0
	.end_amdhsa_kernel
	.section	.text._ZN9rocsparseL22gebsrmvn_mxn_16_kernelILj40ELj10ELj4E21rocsparse_complex_numIdEEEvi20rocsparse_direction_NS_24const_host_device_scalarIT2_EEPKiS8_PKS5_iiSA_S6_PS5_21rocsparse_index_base_b,"axG",@progbits,_ZN9rocsparseL22gebsrmvn_mxn_16_kernelILj40ELj10ELj4E21rocsparse_complex_numIdEEEvi20rocsparse_direction_NS_24const_host_device_scalarIT2_EEPKiS8_PKS5_iiSA_S6_PS5_21rocsparse_index_base_b,comdat
.Lfunc_end115:
	.size	_ZN9rocsparseL22gebsrmvn_mxn_16_kernelILj40ELj10ELj4E21rocsparse_complex_numIdEEEvi20rocsparse_direction_NS_24const_host_device_scalarIT2_EEPKiS8_PKS5_iiSA_S6_PS5_21rocsparse_index_base_b, .Lfunc_end115-_ZN9rocsparseL22gebsrmvn_mxn_16_kernelILj40ELj10ELj4E21rocsparse_complex_numIdEEEvi20rocsparse_direction_NS_24const_host_device_scalarIT2_EEPKiS8_PKS5_iiSA_S6_PS5_21rocsparse_index_base_b
                                        ; -- End function
	.set _ZN9rocsparseL22gebsrmvn_mxn_16_kernelILj40ELj10ELj4E21rocsparse_complex_numIdEEEvi20rocsparse_direction_NS_24const_host_device_scalarIT2_EEPKiS8_PKS5_iiSA_S6_PS5_21rocsparse_index_base_b.num_vgpr, 28
	.set _ZN9rocsparseL22gebsrmvn_mxn_16_kernelILj40ELj10ELj4E21rocsparse_complex_numIdEEEvi20rocsparse_direction_NS_24const_host_device_scalarIT2_EEPKiS8_PKS5_iiSA_S6_PS5_21rocsparse_index_base_b.num_agpr, 0
	.set _ZN9rocsparseL22gebsrmvn_mxn_16_kernelILj40ELj10ELj4E21rocsparse_complex_numIdEEEvi20rocsparse_direction_NS_24const_host_device_scalarIT2_EEPKiS8_PKS5_iiSA_S6_PS5_21rocsparse_index_base_b.numbered_sgpr, 18
	.set _ZN9rocsparseL22gebsrmvn_mxn_16_kernelILj40ELj10ELj4E21rocsparse_complex_numIdEEEvi20rocsparse_direction_NS_24const_host_device_scalarIT2_EEPKiS8_PKS5_iiSA_S6_PS5_21rocsparse_index_base_b.num_named_barrier, 0
	.set _ZN9rocsparseL22gebsrmvn_mxn_16_kernelILj40ELj10ELj4E21rocsparse_complex_numIdEEEvi20rocsparse_direction_NS_24const_host_device_scalarIT2_EEPKiS8_PKS5_iiSA_S6_PS5_21rocsparse_index_base_b.private_seg_size, 0
	.set _ZN9rocsparseL22gebsrmvn_mxn_16_kernelILj40ELj10ELj4E21rocsparse_complex_numIdEEEvi20rocsparse_direction_NS_24const_host_device_scalarIT2_EEPKiS8_PKS5_iiSA_S6_PS5_21rocsparse_index_base_b.uses_vcc, 1
	.set _ZN9rocsparseL22gebsrmvn_mxn_16_kernelILj40ELj10ELj4E21rocsparse_complex_numIdEEEvi20rocsparse_direction_NS_24const_host_device_scalarIT2_EEPKiS8_PKS5_iiSA_S6_PS5_21rocsparse_index_base_b.uses_flat_scratch, 0
	.set _ZN9rocsparseL22gebsrmvn_mxn_16_kernelILj40ELj10ELj4E21rocsparse_complex_numIdEEEvi20rocsparse_direction_NS_24const_host_device_scalarIT2_EEPKiS8_PKS5_iiSA_S6_PS5_21rocsparse_index_base_b.has_dyn_sized_stack, 0
	.set _ZN9rocsparseL22gebsrmvn_mxn_16_kernelILj40ELj10ELj4E21rocsparse_complex_numIdEEEvi20rocsparse_direction_NS_24const_host_device_scalarIT2_EEPKiS8_PKS5_iiSA_S6_PS5_21rocsparse_index_base_b.has_recursion, 0
	.set _ZN9rocsparseL22gebsrmvn_mxn_16_kernelILj40ELj10ELj4E21rocsparse_complex_numIdEEEvi20rocsparse_direction_NS_24const_host_device_scalarIT2_EEPKiS8_PKS5_iiSA_S6_PS5_21rocsparse_index_base_b.has_indirect_call, 0
	.section	.AMDGPU.csdata,"",@progbits
; Kernel info:
; codeLenInByte = 1128
; TotalNumSgprs: 22
; NumVgprs: 28
; ScratchSize: 0
; MemoryBound: 0
; FloatMode: 240
; IeeeMode: 1
; LDSByteSize: 640 bytes/workgroup (compile time only)
; SGPRBlocks: 2
; VGPRBlocks: 6
; NumSGPRsForWavesPerEU: 22
; NumVGPRsForWavesPerEU: 28
; Occupancy: 9
; WaveLimiterHint : 1
; COMPUTE_PGM_RSRC2:SCRATCH_EN: 0
; COMPUTE_PGM_RSRC2:USER_SGPR: 6
; COMPUTE_PGM_RSRC2:TRAP_HANDLER: 0
; COMPUTE_PGM_RSRC2:TGID_X_EN: 1
; COMPUTE_PGM_RSRC2:TGID_Y_EN: 0
; COMPUTE_PGM_RSRC2:TGID_Z_EN: 0
; COMPUTE_PGM_RSRC2:TIDIG_COMP_CNT: 0
	.section	.text._ZN9rocsparseL22gebsrmvn_mxn_16_kernelILj50ELj10ELj5E21rocsparse_complex_numIdEEEvi20rocsparse_direction_NS_24const_host_device_scalarIT2_EEPKiS8_PKS5_iiSA_S6_PS5_21rocsparse_index_base_b,"axG",@progbits,_ZN9rocsparseL22gebsrmvn_mxn_16_kernelILj50ELj10ELj5E21rocsparse_complex_numIdEEEvi20rocsparse_direction_NS_24const_host_device_scalarIT2_EEPKiS8_PKS5_iiSA_S6_PS5_21rocsparse_index_base_b,comdat
	.globl	_ZN9rocsparseL22gebsrmvn_mxn_16_kernelILj50ELj10ELj5E21rocsparse_complex_numIdEEEvi20rocsparse_direction_NS_24const_host_device_scalarIT2_EEPKiS8_PKS5_iiSA_S6_PS5_21rocsparse_index_base_b ; -- Begin function _ZN9rocsparseL22gebsrmvn_mxn_16_kernelILj50ELj10ELj5E21rocsparse_complex_numIdEEEvi20rocsparse_direction_NS_24const_host_device_scalarIT2_EEPKiS8_PKS5_iiSA_S6_PS5_21rocsparse_index_base_b
	.p2align	8
	.type	_ZN9rocsparseL22gebsrmvn_mxn_16_kernelILj50ELj10ELj5E21rocsparse_complex_numIdEEEvi20rocsparse_direction_NS_24const_host_device_scalarIT2_EEPKiS8_PKS5_iiSA_S6_PS5_21rocsparse_index_base_b,@function
_ZN9rocsparseL22gebsrmvn_mxn_16_kernelILj50ELj10ELj5E21rocsparse_complex_numIdEEEvi20rocsparse_direction_NS_24const_host_device_scalarIT2_EEPKiS8_PKS5_iiSA_S6_PS5_21rocsparse_index_base_b: ; @_ZN9rocsparseL22gebsrmvn_mxn_16_kernelILj50ELj10ELj5E21rocsparse_complex_numIdEEEvi20rocsparse_direction_NS_24const_host_device_scalarIT2_EEPKiS8_PKS5_iiSA_S6_PS5_21rocsparse_index_base_b
; %bb.0:
	s_load_dwordx2 s[0:1], s[4:5], 0x8
	s_load_dwordx2 s[2:3], s[4:5], 0x40
	;; [unrolled: 1-line block ×3, first 2 shown]
	s_add_u32 s7, s4, 8
	s_addc_u32 s8, s5, 0
	s_add_u32 s9, s4, 64
	s_addc_u32 s12, s5, 0
	s_waitcnt lgkmcnt(0)
	s_bitcmp1_b32 s11, 0
	s_cselect_b32 s1, s8, s1
	s_cselect_b32 s0, s7, s0
	v_mov_b32_e32 v1, s0
	v_mov_b32_e32 v2, s1
	flat_load_dwordx4 v[5:8], v[1:2]
	s_cselect_b32 s0, s12, s3
	s_cselect_b32 s1, s9, s2
	v_mov_b32_e32 v1, s1
	v_mov_b32_e32 v2, s0
	flat_load_dwordx4 v[1:4], v[1:2]
	s_waitcnt vmcnt(0) lgkmcnt(0)
	v_cmp_eq_f64_e32 vcc, 0, v[5:6]
	v_cmp_eq_f64_e64 s[0:1], 0, v[7:8]
	s_and_b64 s[8:9], vcc, s[0:1]
	s_mov_b64 s[0:1], -1
	s_and_saveexec_b64 s[2:3], s[8:9]
	s_cbranch_execz .LBB116_2
; %bb.1:
	v_cmp_neq_f64_e32 vcc, 1.0, v[1:2]
	v_cmp_neq_f64_e64 s[0:1], 0, v[3:4]
	s_or_b64 s[0:1], vcc, s[0:1]
	s_orn2_b64 s[0:1], s[0:1], exec
.LBB116_2:
	s_or_b64 exec, exec, s[2:3]
	s_and_saveexec_b64 s[2:3], s[0:1]
	s_cbranch_execz .LBB116_35
; %bb.3:
	s_load_dwordx2 s[0:1], s[4:5], 0x18
	s_load_dword s2, s[4:5], 0x4
	v_mul_u32_u24_e32 v10, 0x3334, v0
	v_mov_b32_e32 v9, 5
	v_mul_lo_u16_sdwa v10, v10, v9 dst_sel:DWORD dst_unused:UNUSED_PAD src0_sel:WORD_1 src1_sel:DWORD
	v_sub_u16_e32 v18, v0, v10
	s_waitcnt lgkmcnt(0)
	s_cmp_lg_u32 s2, 1
	s_cselect_b64 s[12:13], -1, 0
	s_and_b64 vcc, exec, s[12:13]
	v_mov_b32_e32 v13, v18
	s_cbranch_vccnz .LBB116_5
; %bb.4:
	s_movk_i32 s2, 0x199a
	v_mul_u32_u24_sdwa v10, v0, s2 dst_sel:DWORD dst_unused:UNUSED_PAD src0_sel:WORD_0 src1_sel:DWORD
	v_mov_b32_e32 v11, 52
	v_mul_lo_u16_sdwa v11, v10, v11 dst_sel:DWORD dst_unused:UNUSED_PAD src0_sel:WORD_1 src1_sel:DWORD
	v_mul_lo_u16_sdwa v9, v11, v9 dst_sel:DWORD dst_unused:UNUSED_PAD src0_sel:BYTE_1 src1_sel:DWORD
	v_sub_u16_sdwa v9, v10, v9 dst_sel:DWORD dst_unused:UNUSED_PAD src0_sel:WORD_1 src1_sel:DWORD
	v_and_b32_e32 v13, 0xff, v9
.LBB116_5:
	s_ashr_i32 s7, s6, 31
	s_lshl_b64 s[2:3], s[6:7], 2
	s_add_u32 s0, s0, s2
	s_addc_u32 s1, s1, s3
	s_load_dwordx2 s[16:17], s[0:1], 0x0
	s_load_dwordx2 s[8:9], s[4:5], 0x50
	v_mov_b32_e32 v11, 0
	v_mov_b32_e32 v9, 0
	v_mov_b32_e32 v12, 0
	s_waitcnt lgkmcnt(0)
	s_cmp_ge_i32 s16, s17
	v_mov_b32_e32 v10, 0
	s_cbranch_scc1 .LBB116_10
; %bb.6:
	s_load_dwordx4 s[0:3], s[4:5], 0x20
	s_load_dwordx2 s[14:15], s[4:5], 0x38
	v_mad_u64_u32 v[9:10], s[4:5], s16, 50, v[0:1]
	s_movk_i32 s4, 0x51f
	v_mul_u32_u24_sdwa v19, v0, s4 dst_sel:DWORD dst_unused:UNUSED_PAD src0_sel:WORD_0 src1_sel:DWORD
	s_mul_i32 s4, s10, 50
	v_mov_b32_e32 v11, 0
	v_subrev_u32_e32 v14, s4, v9
	v_mov_b32_e32 v12, 0
	v_mov_b32_e32 v9, v11
	s_sub_i32 s7, s17, s10
	s_sub_i32 s11, s16, s10
	v_mov_b32_e32 v15, 0
	v_mov_b32_e32 v10, v12
	s_branch .LBB116_8
.LBB116_7:                              ;   in Loop: Header=BB116_8 Depth=1
	s_or_b64 exec, exec, s[4:5]
	s_add_i32 s11, s11, 1
	s_cmp_ge_i32 s11, s7
	v_add_u32_e32 v14, 50, v14
	s_cbranch_scc1 .LBB116_10
.LBB116_8:                              ; =>This Inner Loop Header: Depth=1
	v_add_u32_sdwa v16, v19, s11 dst_sel:DWORD dst_unused:UNUSED_PAD src0_sel:WORD_1 src1_sel:DWORD
	v_cmp_gt_i32_e32 vcc, s7, v16
	s_and_saveexec_b64 s[4:5], vcc
	s_cbranch_execz .LBB116_7
; %bb.9:                                ;   in Loop: Header=BB116_8 Depth=1
	v_ashrrev_i32_e32 v17, 31, v16
	v_lshlrev_b64 v[16:17], 2, v[16:17]
	s_waitcnt lgkmcnt(0)
	v_mov_b32_e32 v20, s1
	v_add_co_u32_e32 v16, vcc, s0, v16
	v_addc_co_u32_e32 v17, vcc, v20, v17, vcc
	global_load_dword v20, v[16:17], off
	v_lshlrev_b64 v[16:17], 4, v[14:15]
	v_mov_b32_e32 v21, s3
	v_add_co_u32_e32 v16, vcc, s2, v16
	v_addc_co_u32_e32 v17, vcc, v21, v17, vcc
	v_mov_b32_e32 v26, s15
	s_waitcnt vmcnt(0)
	v_subrev_u32_e32 v20, s10, v20
	v_mad_u64_u32 v[24:25], s[16:17], v20, 5, v[13:14]
	global_load_dwordx4 v[20:23], v[16:17], off
	v_ashrrev_i32_e32 v25, 31, v24
	v_lshlrev_b64 v[16:17], 4, v[24:25]
	v_add_co_u32_e32 v16, vcc, s14, v16
	v_addc_co_u32_e32 v17, vcc, v26, v17, vcc
	global_load_dwordx4 v[24:27], v[16:17], off
	s_waitcnt vmcnt(0)
	v_fma_f64 v[9:10], v[20:21], v[24:25], v[9:10]
	v_fma_f64 v[11:12], v[22:23], v[24:25], v[11:12]
	v_fma_f64 v[9:10], -v[22:23], v[26:27], v[9:10]
	v_fma_f64 v[11:12], v[20:21], v[26:27], v[11:12]
	s_branch .LBB116_7
.LBB116_10:
	v_lshlrev_b32_e32 v17, 4, v0
	s_and_b64 vcc, exec, s[12:13]
	ds_write_b128 v17, v[9:12]
	s_waitcnt lgkmcnt(0)
	; wave barrier
	s_cbranch_vccz .LBB116_20
; %bb.11:
	v_cmp_eq_u16_e32 vcc, 0, v18
	s_and_saveexec_b64 s[0:1], vcc
	s_cbranch_execz .LBB116_13
; %bb.12:
	ds_read_b128 v[13:16], v17 offset:64
	ds_read_b128 v[19:22], v17
	s_waitcnt lgkmcnt(0)
	v_add_f64 v[13:14], v[13:14], v[19:20]
	v_add_f64 v[15:16], v[15:16], v[21:22]
	ds_write_b128 v17, v[13:16]
.LBB116_13:
	s_or_b64 exec, exec, s[0:1]
	v_cmp_gt_u16_e64 s[0:1], 2, v18
	s_waitcnt lgkmcnt(0)
	; wave barrier
	s_and_saveexec_b64 s[2:3], s[0:1]
	s_cbranch_execz .LBB116_15
; %bb.14:
	ds_read_b128 v[13:16], v17
	ds_read_b128 v[18:21], v17 offset:32
	s_waitcnt lgkmcnt(0)
	v_add_f64 v[13:14], v[18:19], v[13:14]
	v_add_f64 v[15:16], v[20:21], v[15:16]
	ds_write_b128 v17, v[13:16]
.LBB116_15:
	s_or_b64 exec, exec, s[2:3]
	s_waitcnt lgkmcnt(0)
	; wave barrier
	s_and_saveexec_b64 s[0:1], vcc
	s_cbranch_execz .LBB116_17
; %bb.16:
	ds_read_b128 v[13:16], v17
	ds_read_b128 v[18:21], v17 offset:16
	s_waitcnt lgkmcnt(0)
	v_add_f64 v[13:14], v[18:19], v[13:14]
	v_add_f64 v[15:16], v[20:21], v[15:16]
	ds_write_b128 v17, v[13:16]
.LBB116_17:
	s_or_b64 exec, exec, s[0:1]
	v_mov_b32_e32 v16, v12
	v_mov_b32_e32 v14, v10
	v_cmp_gt_u32_e32 vcc, 10, v0
	v_mov_b32_e32 v15, v11
	v_mov_b32_e32 v13, v9
	s_waitcnt lgkmcnt(0)
	; wave barrier
	s_and_saveexec_b64 s[0:1], vcc
; %bb.18:
	v_lshl_add_u32 v13, v0, 6, v17
	ds_read_b128 v[13:16], v13
; %bb.19:
	s_or_b64 exec, exec, s[0:1]
	v_cmp_gt_u32_e64 s[0:1], 10, v0
	s_branch .LBB116_30
.LBB116_20:
                                        ; implicit-def: $vgpr15_vgpr16
	v_cmp_gt_u32_e64 s[0:1], 10, v0
	s_cbranch_execz .LBB116_30
; %bb.21:
	v_cmp_lt_u32_e32 vcc, 9, v0
	s_and_saveexec_b64 s[2:3], s[0:1]
	s_cbranch_execz .LBB116_23
; %bb.22:
	s_waitcnt lgkmcnt(0)
	ds_read_b128 v[13:16], v17 offset:640
	ds_read_b128 v[18:21], v17
	s_waitcnt lgkmcnt(0)
	v_add_f64 v[13:14], v[13:14], v[18:19]
	v_add_f64 v[15:16], v[15:16], v[20:21]
	ds_write_b128 v17, v[13:16]
.LBB116_23:
	s_or_b64 exec, exec, s[2:3]
	v_cmp_gt_u32_e64 s[0:1], 20, v0
	s_waitcnt lgkmcnt(0)
	; wave barrier
	s_and_saveexec_b64 s[2:3], s[0:1]
	s_cbranch_execz .LBB116_25
; %bb.24:
	ds_read_b128 v[13:16], v17 offset:320
	ds_read_b128 v[18:21], v17
	s_waitcnt lgkmcnt(0)
	v_add_f64 v[13:14], v[13:14], v[18:19]
	v_add_f64 v[15:16], v[15:16], v[20:21]
	ds_write_b128 v17, v[13:16]
.LBB116_25:
	s_or_b64 exec, exec, s[2:3]
	s_waitcnt lgkmcnt(0)
	s_and_saveexec_b64 s[0:1], vcc
	s_xor_b64 s[0:1], exec, s[0:1]
; %bb.26:
                                        ; implicit-def: $vgpr17
; %bb.27:
	s_andn2_saveexec_b64 s[0:1], s[0:1]
	s_cbranch_execz .LBB116_29
; %bb.28:
	ds_read_b128 v[9:12], v17 offset:160
	ds_read_b128 v[13:16], v17
	s_waitcnt lgkmcnt(0)
	v_add_f64 v[9:10], v[9:10], v[13:14]
	v_add_f64 v[11:12], v[11:12], v[15:16]
	ds_write_b128 v17, v[9:12]
	s_waitcnt lgkmcnt(0)
	ds_read_b128 v[9:12], v17
.LBB116_29:
	s_or_b64 exec, exec, s[0:1]
	s_waitcnt lgkmcnt(0)
	v_mov_b32_e32 v16, v12
	v_mov_b32_e32 v14, v10
	;; [unrolled: 1-line block ×4, first 2 shown]
.LBB116_30:
	v_cmp_gt_u32_e32 vcc, 10, v0
	s_and_b64 exec, exec, vcc
	s_cbranch_execz .LBB116_35
; %bb.31:
	s_waitcnt lgkmcnt(0)
	v_mul_f64 v[9:10], v[15:16], -v[7:8]
	v_mul_f64 v[11:12], v[5:6], v[15:16]
	v_cmp_eq_f64_e32 vcc, 0, v[1:2]
	v_cmp_eq_f64_e64 s[0:1], 0, v[3:4]
	v_fma_f64 v[5:6], v[5:6], v[13:14], v[9:10]
	v_fma_f64 v[7:8], v[7:8], v[13:14], v[11:12]
	s_and_b64 s[0:1], vcc, s[0:1]
	s_and_saveexec_b64 s[2:3], s[0:1]
	s_xor_b64 s[0:1], exec, s[2:3]
	s_cbranch_execz .LBB116_33
; %bb.32:
	v_mad_u64_u32 v[0:1], s[2:3], s6, 10, v[0:1]
	v_mov_b32_e32 v1, 0
	v_mov_b32_e32 v2, s9
	v_lshlrev_b64 v[0:1], 4, v[0:1]
	v_add_co_u32_e32 v0, vcc, s8, v0
	v_addc_co_u32_e32 v1, vcc, v2, v1, vcc
	global_store_dwordx4 v[0:1], v[5:8], off
                                        ; implicit-def: $vgpr0
                                        ; implicit-def: $vgpr1_vgpr2
                                        ; implicit-def: $vgpr5_vgpr6
.LBB116_33:
	s_andn2_saveexec_b64 s[0:1], s[0:1]
	s_cbranch_execz .LBB116_35
; %bb.34:
	v_mad_u64_u32 v[9:10], s[0:1], s6, 10, v[0:1]
	v_mov_b32_e32 v10, 0
	v_mov_b32_e32 v0, s9
	v_lshlrev_b64 v[9:10], 4, v[9:10]
	v_add_co_u32_e32 v13, vcc, s8, v9
	v_addc_co_u32_e32 v14, vcc, v0, v10, vcc
	global_load_dwordx4 v[9:12], v[13:14], off
	s_waitcnt vmcnt(0)
	v_fma_f64 v[5:6], v[1:2], v[9:10], v[5:6]
	v_fma_f64 v[7:8], v[3:4], v[9:10], v[7:8]
	v_fma_f64 v[3:4], -v[3:4], v[11:12], v[5:6]
	v_fma_f64 v[5:6], v[1:2], v[11:12], v[7:8]
	global_store_dwordx4 v[13:14], v[3:6], off
.LBB116_35:
	s_endpgm
	.section	.rodata,"a",@progbits
	.p2align	6, 0x0
	.amdhsa_kernel _ZN9rocsparseL22gebsrmvn_mxn_16_kernelILj50ELj10ELj5E21rocsparse_complex_numIdEEEvi20rocsparse_direction_NS_24const_host_device_scalarIT2_EEPKiS8_PKS5_iiSA_S6_PS5_21rocsparse_index_base_b
		.amdhsa_group_segment_fixed_size 800
		.amdhsa_private_segment_fixed_size 0
		.amdhsa_kernarg_size 96
		.amdhsa_user_sgpr_count 6
		.amdhsa_user_sgpr_private_segment_buffer 1
		.amdhsa_user_sgpr_dispatch_ptr 0
		.amdhsa_user_sgpr_queue_ptr 0
		.amdhsa_user_sgpr_kernarg_segment_ptr 1
		.amdhsa_user_sgpr_dispatch_id 0
		.amdhsa_user_sgpr_flat_scratch_init 0
		.amdhsa_user_sgpr_private_segment_size 0
		.amdhsa_uses_dynamic_stack 0
		.amdhsa_system_sgpr_private_segment_wavefront_offset 0
		.amdhsa_system_sgpr_workgroup_id_x 1
		.amdhsa_system_sgpr_workgroup_id_y 0
		.amdhsa_system_sgpr_workgroup_id_z 0
		.amdhsa_system_sgpr_workgroup_info 0
		.amdhsa_system_vgpr_workitem_id 0
		.amdhsa_next_free_vgpr 28
		.amdhsa_next_free_sgpr 18
		.amdhsa_reserve_vcc 1
		.amdhsa_reserve_flat_scratch 0
		.amdhsa_float_round_mode_32 0
		.amdhsa_float_round_mode_16_64 0
		.amdhsa_float_denorm_mode_32 3
		.amdhsa_float_denorm_mode_16_64 3
		.amdhsa_dx10_clamp 1
		.amdhsa_ieee_mode 1
		.amdhsa_fp16_overflow 0
		.amdhsa_exception_fp_ieee_invalid_op 0
		.amdhsa_exception_fp_denorm_src 0
		.amdhsa_exception_fp_ieee_div_zero 0
		.amdhsa_exception_fp_ieee_overflow 0
		.amdhsa_exception_fp_ieee_underflow 0
		.amdhsa_exception_fp_ieee_inexact 0
		.amdhsa_exception_int_div_zero 0
	.end_amdhsa_kernel
	.section	.text._ZN9rocsparseL22gebsrmvn_mxn_16_kernelILj50ELj10ELj5E21rocsparse_complex_numIdEEEvi20rocsparse_direction_NS_24const_host_device_scalarIT2_EEPKiS8_PKS5_iiSA_S6_PS5_21rocsparse_index_base_b,"axG",@progbits,_ZN9rocsparseL22gebsrmvn_mxn_16_kernelILj50ELj10ELj5E21rocsparse_complex_numIdEEEvi20rocsparse_direction_NS_24const_host_device_scalarIT2_EEPKiS8_PKS5_iiSA_S6_PS5_21rocsparse_index_base_b,comdat
.Lfunc_end116:
	.size	_ZN9rocsparseL22gebsrmvn_mxn_16_kernelILj50ELj10ELj5E21rocsparse_complex_numIdEEEvi20rocsparse_direction_NS_24const_host_device_scalarIT2_EEPKiS8_PKS5_iiSA_S6_PS5_21rocsparse_index_base_b, .Lfunc_end116-_ZN9rocsparseL22gebsrmvn_mxn_16_kernelILj50ELj10ELj5E21rocsparse_complex_numIdEEEvi20rocsparse_direction_NS_24const_host_device_scalarIT2_EEPKiS8_PKS5_iiSA_S6_PS5_21rocsparse_index_base_b
                                        ; -- End function
	.set _ZN9rocsparseL22gebsrmvn_mxn_16_kernelILj50ELj10ELj5E21rocsparse_complex_numIdEEEvi20rocsparse_direction_NS_24const_host_device_scalarIT2_EEPKiS8_PKS5_iiSA_S6_PS5_21rocsparse_index_base_b.num_vgpr, 28
	.set _ZN9rocsparseL22gebsrmvn_mxn_16_kernelILj50ELj10ELj5E21rocsparse_complex_numIdEEEvi20rocsparse_direction_NS_24const_host_device_scalarIT2_EEPKiS8_PKS5_iiSA_S6_PS5_21rocsparse_index_base_b.num_agpr, 0
	.set _ZN9rocsparseL22gebsrmvn_mxn_16_kernelILj50ELj10ELj5E21rocsparse_complex_numIdEEEvi20rocsparse_direction_NS_24const_host_device_scalarIT2_EEPKiS8_PKS5_iiSA_S6_PS5_21rocsparse_index_base_b.numbered_sgpr, 18
	.set _ZN9rocsparseL22gebsrmvn_mxn_16_kernelILj50ELj10ELj5E21rocsparse_complex_numIdEEEvi20rocsparse_direction_NS_24const_host_device_scalarIT2_EEPKiS8_PKS5_iiSA_S6_PS5_21rocsparse_index_base_b.num_named_barrier, 0
	.set _ZN9rocsparseL22gebsrmvn_mxn_16_kernelILj50ELj10ELj5E21rocsparse_complex_numIdEEEvi20rocsparse_direction_NS_24const_host_device_scalarIT2_EEPKiS8_PKS5_iiSA_S6_PS5_21rocsparse_index_base_b.private_seg_size, 0
	.set _ZN9rocsparseL22gebsrmvn_mxn_16_kernelILj50ELj10ELj5E21rocsparse_complex_numIdEEEvi20rocsparse_direction_NS_24const_host_device_scalarIT2_EEPKiS8_PKS5_iiSA_S6_PS5_21rocsparse_index_base_b.uses_vcc, 1
	.set _ZN9rocsparseL22gebsrmvn_mxn_16_kernelILj50ELj10ELj5E21rocsparse_complex_numIdEEEvi20rocsparse_direction_NS_24const_host_device_scalarIT2_EEPKiS8_PKS5_iiSA_S6_PS5_21rocsparse_index_base_b.uses_flat_scratch, 0
	.set _ZN9rocsparseL22gebsrmvn_mxn_16_kernelILj50ELj10ELj5E21rocsparse_complex_numIdEEEvi20rocsparse_direction_NS_24const_host_device_scalarIT2_EEPKiS8_PKS5_iiSA_S6_PS5_21rocsparse_index_base_b.has_dyn_sized_stack, 0
	.set _ZN9rocsparseL22gebsrmvn_mxn_16_kernelILj50ELj10ELj5E21rocsparse_complex_numIdEEEvi20rocsparse_direction_NS_24const_host_device_scalarIT2_EEPKiS8_PKS5_iiSA_S6_PS5_21rocsparse_index_base_b.has_recursion, 0
	.set _ZN9rocsparseL22gebsrmvn_mxn_16_kernelILj50ELj10ELj5E21rocsparse_complex_numIdEEEvi20rocsparse_direction_NS_24const_host_device_scalarIT2_EEPKiS8_PKS5_iiSA_S6_PS5_21rocsparse_index_base_b.has_indirect_call, 0
	.section	.AMDGPU.csdata,"",@progbits
; Kernel info:
; codeLenInByte = 1328
; TotalNumSgprs: 22
; NumVgprs: 28
; ScratchSize: 0
; MemoryBound: 0
; FloatMode: 240
; IeeeMode: 1
; LDSByteSize: 800 bytes/workgroup (compile time only)
; SGPRBlocks: 2
; VGPRBlocks: 6
; NumSGPRsForWavesPerEU: 22
; NumVGPRsForWavesPerEU: 28
; Occupancy: 9
; WaveLimiterHint : 1
; COMPUTE_PGM_RSRC2:SCRATCH_EN: 0
; COMPUTE_PGM_RSRC2:USER_SGPR: 6
; COMPUTE_PGM_RSRC2:TRAP_HANDLER: 0
; COMPUTE_PGM_RSRC2:TGID_X_EN: 1
; COMPUTE_PGM_RSRC2:TGID_Y_EN: 0
; COMPUTE_PGM_RSRC2:TGID_Z_EN: 0
; COMPUTE_PGM_RSRC2:TIDIG_COMP_CNT: 0
	.section	.text._ZN9rocsparseL22gebsrmvn_mxn_16_kernelILj60ELj10ELj6E21rocsparse_complex_numIdEEEvi20rocsparse_direction_NS_24const_host_device_scalarIT2_EEPKiS8_PKS5_iiSA_S6_PS5_21rocsparse_index_base_b,"axG",@progbits,_ZN9rocsparseL22gebsrmvn_mxn_16_kernelILj60ELj10ELj6E21rocsparse_complex_numIdEEEvi20rocsparse_direction_NS_24const_host_device_scalarIT2_EEPKiS8_PKS5_iiSA_S6_PS5_21rocsparse_index_base_b,comdat
	.globl	_ZN9rocsparseL22gebsrmvn_mxn_16_kernelILj60ELj10ELj6E21rocsparse_complex_numIdEEEvi20rocsparse_direction_NS_24const_host_device_scalarIT2_EEPKiS8_PKS5_iiSA_S6_PS5_21rocsparse_index_base_b ; -- Begin function _ZN9rocsparseL22gebsrmvn_mxn_16_kernelILj60ELj10ELj6E21rocsparse_complex_numIdEEEvi20rocsparse_direction_NS_24const_host_device_scalarIT2_EEPKiS8_PKS5_iiSA_S6_PS5_21rocsparse_index_base_b
	.p2align	8
	.type	_ZN9rocsparseL22gebsrmvn_mxn_16_kernelILj60ELj10ELj6E21rocsparse_complex_numIdEEEvi20rocsparse_direction_NS_24const_host_device_scalarIT2_EEPKiS8_PKS5_iiSA_S6_PS5_21rocsparse_index_base_b,@function
_ZN9rocsparseL22gebsrmvn_mxn_16_kernelILj60ELj10ELj6E21rocsparse_complex_numIdEEEvi20rocsparse_direction_NS_24const_host_device_scalarIT2_EEPKiS8_PKS5_iiSA_S6_PS5_21rocsparse_index_base_b: ; @_ZN9rocsparseL22gebsrmvn_mxn_16_kernelILj60ELj10ELj6E21rocsparse_complex_numIdEEEvi20rocsparse_direction_NS_24const_host_device_scalarIT2_EEPKiS8_PKS5_iiSA_S6_PS5_21rocsparse_index_base_b
; %bb.0:
	s_load_dwordx2 s[0:1], s[4:5], 0x8
	s_load_dwordx2 s[2:3], s[4:5], 0x40
	;; [unrolled: 1-line block ×3, first 2 shown]
	s_add_u32 s7, s4, 8
	s_addc_u32 s8, s5, 0
	s_add_u32 s9, s4, 64
	s_addc_u32 s12, s5, 0
	s_waitcnt lgkmcnt(0)
	s_bitcmp1_b32 s11, 0
	s_cselect_b32 s1, s8, s1
	s_cselect_b32 s0, s7, s0
	v_mov_b32_e32 v1, s0
	v_mov_b32_e32 v2, s1
	flat_load_dwordx4 v[5:8], v[1:2]
	s_cselect_b32 s0, s12, s3
	s_cselect_b32 s1, s9, s2
	v_mov_b32_e32 v1, s1
	v_mov_b32_e32 v2, s0
	flat_load_dwordx4 v[1:4], v[1:2]
	s_waitcnt vmcnt(0) lgkmcnt(0)
	v_cmp_eq_f64_e32 vcc, 0, v[5:6]
	v_cmp_eq_f64_e64 s[0:1], 0, v[7:8]
	s_and_b64 s[8:9], vcc, s[0:1]
	s_mov_b64 s[0:1], -1
	s_and_saveexec_b64 s[2:3], s[8:9]
	s_cbranch_execz .LBB117_2
; %bb.1:
	v_cmp_neq_f64_e32 vcc, 1.0, v[1:2]
	v_cmp_neq_f64_e64 s[0:1], 0, v[3:4]
	s_or_b64 s[0:1], vcc, s[0:1]
	s_orn2_b64 s[0:1], s[0:1], exec
.LBB117_2:
	s_or_b64 exec, exec, s[2:3]
	s_and_saveexec_b64 s[2:3], s[0:1]
	s_cbranch_execz .LBB117_35
; %bb.3:
	s_load_dwordx2 s[0:1], s[4:5], 0x18
	s_load_dword s2, s[4:5], 0x4
	v_mul_u32_u24_e32 v10, 0x2aab, v0
	v_mov_b32_e32 v9, 6
	v_mul_lo_u16_sdwa v10, v10, v9 dst_sel:DWORD dst_unused:UNUSED_PAD src0_sel:WORD_1 src1_sel:DWORD
	v_sub_u16_e32 v18, v0, v10
	s_waitcnt lgkmcnt(0)
	s_cmp_lg_u32 s2, 1
	s_cselect_b64 s[12:13], -1, 0
	s_and_b64 vcc, exec, s[12:13]
	v_mov_b32_e32 v13, v18
	s_cbranch_vccnz .LBB117_5
; %bb.4:
	s_movk_i32 s2, 0x199a
	v_mul_u32_u24_sdwa v10, v0, s2 dst_sel:DWORD dst_unused:UNUSED_PAD src0_sel:WORD_0 src1_sel:DWORD
	v_mov_b32_e32 v11, 43
	v_mul_lo_u16_sdwa v11, v10, v11 dst_sel:DWORD dst_unused:UNUSED_PAD src0_sel:WORD_1 src1_sel:DWORD
	v_mul_lo_u16_sdwa v9, v11, v9 dst_sel:DWORD dst_unused:UNUSED_PAD src0_sel:BYTE_1 src1_sel:DWORD
	v_sub_u16_sdwa v9, v10, v9 dst_sel:DWORD dst_unused:UNUSED_PAD src0_sel:WORD_1 src1_sel:DWORD
	v_and_b32_e32 v13, 0xff, v9
.LBB117_5:
	s_ashr_i32 s7, s6, 31
	s_lshl_b64 s[2:3], s[6:7], 2
	s_add_u32 s0, s0, s2
	s_addc_u32 s1, s1, s3
	s_load_dwordx2 s[16:17], s[0:1], 0x0
	s_load_dwordx2 s[8:9], s[4:5], 0x50
	v_mov_b32_e32 v11, 0
	v_mov_b32_e32 v9, 0
	v_mov_b32_e32 v12, 0
	s_waitcnt lgkmcnt(0)
	s_cmp_ge_i32 s16, s17
	v_mov_b32_e32 v10, 0
	s_cbranch_scc1 .LBB117_10
; %bb.6:
	s_load_dwordx4 s[0:3], s[4:5], 0x20
	s_load_dwordx2 s[14:15], s[4:5], 0x38
	v_mad_u64_u32 v[9:10], s[4:5], s16, 60, v[0:1]
	s_movk_i32 s4, 0x445
	v_mul_u32_u24_sdwa v19, v0, s4 dst_sel:DWORD dst_unused:UNUSED_PAD src0_sel:WORD_0 src1_sel:DWORD
	s_mul_i32 s4, s10, 60
	v_mov_b32_e32 v11, 0
	v_subrev_u32_e32 v14, s4, v9
	v_mov_b32_e32 v12, 0
	v_mov_b32_e32 v9, v11
	s_sub_i32 s7, s17, s10
	s_sub_i32 s11, s16, s10
	v_mov_b32_e32 v15, 0
	v_mov_b32_e32 v10, v12
	s_branch .LBB117_8
.LBB117_7:                              ;   in Loop: Header=BB117_8 Depth=1
	s_or_b64 exec, exec, s[4:5]
	s_add_i32 s11, s11, 1
	s_cmp_ge_i32 s11, s7
	v_add_u32_e32 v14, 60, v14
	s_cbranch_scc1 .LBB117_10
.LBB117_8:                              ; =>This Inner Loop Header: Depth=1
	v_add_u32_sdwa v16, v19, s11 dst_sel:DWORD dst_unused:UNUSED_PAD src0_sel:WORD_1 src1_sel:DWORD
	v_cmp_gt_i32_e32 vcc, s7, v16
	s_and_saveexec_b64 s[4:5], vcc
	s_cbranch_execz .LBB117_7
; %bb.9:                                ;   in Loop: Header=BB117_8 Depth=1
	v_ashrrev_i32_e32 v17, 31, v16
	v_lshlrev_b64 v[16:17], 2, v[16:17]
	s_waitcnt lgkmcnt(0)
	v_mov_b32_e32 v20, s1
	v_add_co_u32_e32 v16, vcc, s0, v16
	v_addc_co_u32_e32 v17, vcc, v20, v17, vcc
	global_load_dword v20, v[16:17], off
	v_lshlrev_b64 v[16:17], 4, v[14:15]
	v_mov_b32_e32 v21, s3
	v_add_co_u32_e32 v16, vcc, s2, v16
	v_addc_co_u32_e32 v17, vcc, v21, v17, vcc
	v_mov_b32_e32 v26, s15
	s_waitcnt vmcnt(0)
	v_subrev_u32_e32 v20, s10, v20
	v_mad_u64_u32 v[24:25], s[16:17], v20, 6, v[13:14]
	global_load_dwordx4 v[20:23], v[16:17], off
	v_ashrrev_i32_e32 v25, 31, v24
	v_lshlrev_b64 v[16:17], 4, v[24:25]
	v_add_co_u32_e32 v16, vcc, s14, v16
	v_addc_co_u32_e32 v17, vcc, v26, v17, vcc
	global_load_dwordx4 v[24:27], v[16:17], off
	s_waitcnt vmcnt(0)
	v_fma_f64 v[9:10], v[20:21], v[24:25], v[9:10]
	v_fma_f64 v[11:12], v[22:23], v[24:25], v[11:12]
	v_fma_f64 v[9:10], -v[22:23], v[26:27], v[9:10]
	v_fma_f64 v[11:12], v[20:21], v[26:27], v[11:12]
	s_branch .LBB117_7
.LBB117_10:
	v_lshlrev_b32_e32 v17, 4, v0
	s_and_b64 vcc, exec, s[12:13]
	ds_write_b128 v17, v[9:12]
	s_waitcnt lgkmcnt(0)
	; wave barrier
	s_cbranch_vccz .LBB117_20
; %bb.11:
	v_cmp_gt_u16_e32 vcc, 2, v18
	s_and_saveexec_b64 s[0:1], vcc
	s_cbranch_execz .LBB117_13
; %bb.12:
	ds_read_b128 v[13:16], v17 offset:64
	ds_read_b128 v[19:22], v17
	s_waitcnt lgkmcnt(0)
	v_add_f64 v[13:14], v[13:14], v[19:20]
	v_add_f64 v[15:16], v[15:16], v[21:22]
	ds_write_b128 v17, v[13:16]
.LBB117_13:
	s_or_b64 exec, exec, s[0:1]
	s_waitcnt lgkmcnt(0)
	; wave barrier
	s_and_saveexec_b64 s[0:1], vcc
	s_cbranch_execz .LBB117_15
; %bb.14:
	ds_read_b128 v[13:16], v17
	ds_read_b128 v[19:22], v17 offset:32
	s_waitcnt lgkmcnt(0)
	v_add_f64 v[13:14], v[19:20], v[13:14]
	v_add_f64 v[15:16], v[21:22], v[15:16]
	ds_write_b128 v17, v[13:16]
.LBB117_15:
	s_or_b64 exec, exec, s[0:1]
	v_cmp_eq_u16_e32 vcc, 0, v18
	s_waitcnt lgkmcnt(0)
	; wave barrier
	s_and_saveexec_b64 s[0:1], vcc
	s_cbranch_execz .LBB117_17
; %bb.16:
	ds_read_b128 v[13:16], v17
	ds_read_b128 v[18:21], v17 offset:16
	s_waitcnt lgkmcnt(0)
	v_add_f64 v[13:14], v[18:19], v[13:14]
	v_add_f64 v[15:16], v[20:21], v[15:16]
	ds_write_b128 v17, v[13:16]
.LBB117_17:
	s_or_b64 exec, exec, s[0:1]
	v_mov_b32_e32 v16, v12
	v_mov_b32_e32 v14, v10
	v_cmp_gt_u32_e32 vcc, 10, v0
	v_mov_b32_e32 v15, v11
	v_mov_b32_e32 v13, v9
	s_waitcnt lgkmcnt(0)
	; wave barrier
	s_and_saveexec_b64 s[0:1], vcc
; %bb.18:
	s_movk_i32 s2, 0x50
	v_mad_u32_u24 v13, v0, s2, v17
	ds_read_b128 v[13:16], v13
; %bb.19:
	s_or_b64 exec, exec, s[0:1]
	s_branch .LBB117_30
.LBB117_20:
                                        ; implicit-def: $vgpr15_vgpr16
	s_cbranch_execz .LBB117_30
; %bb.21:
	v_cmp_gt_u32_e32 vcc, 20, v0
	s_and_saveexec_b64 s[0:1], vcc
	s_cbranch_execz .LBB117_23
; %bb.22:
	s_waitcnt lgkmcnt(0)
	ds_read_b128 v[13:16], v17 offset:640
	ds_read_b128 v[18:21], v17
	s_waitcnt lgkmcnt(0)
	v_add_f64 v[13:14], v[13:14], v[18:19]
	v_add_f64 v[15:16], v[15:16], v[20:21]
	ds_write_b128 v17, v[13:16]
.LBB117_23:
	s_or_b64 exec, exec, s[0:1]
	s_waitcnt lgkmcnt(0)
	; wave barrier
	s_and_saveexec_b64 s[0:1], vcc
	s_cbranch_execz .LBB117_25
; %bb.24:
	ds_read_b128 v[13:16], v17 offset:320
	ds_read_b128 v[18:21], v17
	s_waitcnt lgkmcnt(0)
	v_add_f64 v[13:14], v[13:14], v[18:19]
	v_add_f64 v[15:16], v[15:16], v[20:21]
	ds_write_b128 v17, v[13:16]
.LBB117_25:
	s_or_b64 exec, exec, s[0:1]
	v_cmp_lt_u32_e32 vcc, 9, v0
	s_waitcnt lgkmcnt(0)
	s_and_saveexec_b64 s[0:1], vcc
	s_xor_b64 s[0:1], exec, s[0:1]
; %bb.26:
                                        ; implicit-def: $vgpr17
; %bb.27:
	s_andn2_saveexec_b64 s[0:1], s[0:1]
	s_cbranch_execz .LBB117_29
; %bb.28:
	ds_read_b128 v[9:12], v17 offset:160
	ds_read_b128 v[13:16], v17
	s_waitcnt lgkmcnt(0)
	v_add_f64 v[9:10], v[9:10], v[13:14]
	v_add_f64 v[11:12], v[11:12], v[15:16]
	ds_write_b128 v17, v[9:12]
	s_waitcnt lgkmcnt(0)
	ds_read_b128 v[9:12], v17
.LBB117_29:
	s_or_b64 exec, exec, s[0:1]
	s_waitcnt lgkmcnt(0)
	v_mov_b32_e32 v16, v12
	v_mov_b32_e32 v14, v10
	;; [unrolled: 1-line block ×4, first 2 shown]
.LBB117_30:
	v_cmp_gt_u32_e32 vcc, 10, v0
	s_and_b64 exec, exec, vcc
	s_cbranch_execz .LBB117_35
; %bb.31:
	s_waitcnt lgkmcnt(0)
	v_mul_f64 v[9:10], v[15:16], -v[7:8]
	v_mul_f64 v[11:12], v[5:6], v[15:16]
	v_cmp_eq_f64_e32 vcc, 0, v[1:2]
	v_cmp_eq_f64_e64 s[0:1], 0, v[3:4]
	v_fma_f64 v[5:6], v[5:6], v[13:14], v[9:10]
	v_fma_f64 v[7:8], v[7:8], v[13:14], v[11:12]
	s_and_b64 s[0:1], vcc, s[0:1]
	s_and_saveexec_b64 s[2:3], s[0:1]
	s_xor_b64 s[0:1], exec, s[2:3]
	s_cbranch_execz .LBB117_33
; %bb.32:
	v_mad_u64_u32 v[0:1], s[2:3], s6, 10, v[0:1]
	v_mov_b32_e32 v1, 0
	v_mov_b32_e32 v2, s9
	v_lshlrev_b64 v[0:1], 4, v[0:1]
	v_add_co_u32_e32 v0, vcc, s8, v0
	v_addc_co_u32_e32 v1, vcc, v2, v1, vcc
	global_store_dwordx4 v[0:1], v[5:8], off
                                        ; implicit-def: $vgpr0
                                        ; implicit-def: $vgpr1_vgpr2
                                        ; implicit-def: $vgpr5_vgpr6
.LBB117_33:
	s_andn2_saveexec_b64 s[0:1], s[0:1]
	s_cbranch_execz .LBB117_35
; %bb.34:
	v_mad_u64_u32 v[9:10], s[0:1], s6, 10, v[0:1]
	v_mov_b32_e32 v10, 0
	v_mov_b32_e32 v0, s9
	v_lshlrev_b64 v[9:10], 4, v[9:10]
	v_add_co_u32_e32 v13, vcc, s8, v9
	v_addc_co_u32_e32 v14, vcc, v0, v10, vcc
	global_load_dwordx4 v[9:12], v[13:14], off
	s_waitcnt vmcnt(0)
	v_fma_f64 v[5:6], v[1:2], v[9:10], v[5:6]
	v_fma_f64 v[7:8], v[3:4], v[9:10], v[7:8]
	v_fma_f64 v[3:4], -v[3:4], v[11:12], v[5:6]
	v_fma_f64 v[5:6], v[1:2], v[11:12], v[7:8]
	global_store_dwordx4 v[13:14], v[3:6], off
.LBB117_35:
	s_endpgm
	.section	.rodata,"a",@progbits
	.p2align	6, 0x0
	.amdhsa_kernel _ZN9rocsparseL22gebsrmvn_mxn_16_kernelILj60ELj10ELj6E21rocsparse_complex_numIdEEEvi20rocsparse_direction_NS_24const_host_device_scalarIT2_EEPKiS8_PKS5_iiSA_S6_PS5_21rocsparse_index_base_b
		.amdhsa_group_segment_fixed_size 960
		.amdhsa_private_segment_fixed_size 0
		.amdhsa_kernarg_size 96
		.amdhsa_user_sgpr_count 6
		.amdhsa_user_sgpr_private_segment_buffer 1
		.amdhsa_user_sgpr_dispatch_ptr 0
		.amdhsa_user_sgpr_queue_ptr 0
		.amdhsa_user_sgpr_kernarg_segment_ptr 1
		.amdhsa_user_sgpr_dispatch_id 0
		.amdhsa_user_sgpr_flat_scratch_init 0
		.amdhsa_user_sgpr_private_segment_size 0
		.amdhsa_uses_dynamic_stack 0
		.amdhsa_system_sgpr_private_segment_wavefront_offset 0
		.amdhsa_system_sgpr_workgroup_id_x 1
		.amdhsa_system_sgpr_workgroup_id_y 0
		.amdhsa_system_sgpr_workgroup_id_z 0
		.amdhsa_system_sgpr_workgroup_info 0
		.amdhsa_system_vgpr_workitem_id 0
		.amdhsa_next_free_vgpr 28
		.amdhsa_next_free_sgpr 18
		.amdhsa_reserve_vcc 1
		.amdhsa_reserve_flat_scratch 0
		.amdhsa_float_round_mode_32 0
		.amdhsa_float_round_mode_16_64 0
		.amdhsa_float_denorm_mode_32 3
		.amdhsa_float_denorm_mode_16_64 3
		.amdhsa_dx10_clamp 1
		.amdhsa_ieee_mode 1
		.amdhsa_fp16_overflow 0
		.amdhsa_exception_fp_ieee_invalid_op 0
		.amdhsa_exception_fp_denorm_src 0
		.amdhsa_exception_fp_ieee_div_zero 0
		.amdhsa_exception_fp_ieee_overflow 0
		.amdhsa_exception_fp_ieee_underflow 0
		.amdhsa_exception_fp_ieee_inexact 0
		.amdhsa_exception_int_div_zero 0
	.end_amdhsa_kernel
	.section	.text._ZN9rocsparseL22gebsrmvn_mxn_16_kernelILj60ELj10ELj6E21rocsparse_complex_numIdEEEvi20rocsparse_direction_NS_24const_host_device_scalarIT2_EEPKiS8_PKS5_iiSA_S6_PS5_21rocsparse_index_base_b,"axG",@progbits,_ZN9rocsparseL22gebsrmvn_mxn_16_kernelILj60ELj10ELj6E21rocsparse_complex_numIdEEEvi20rocsparse_direction_NS_24const_host_device_scalarIT2_EEPKiS8_PKS5_iiSA_S6_PS5_21rocsparse_index_base_b,comdat
.Lfunc_end117:
	.size	_ZN9rocsparseL22gebsrmvn_mxn_16_kernelILj60ELj10ELj6E21rocsparse_complex_numIdEEEvi20rocsparse_direction_NS_24const_host_device_scalarIT2_EEPKiS8_PKS5_iiSA_S6_PS5_21rocsparse_index_base_b, .Lfunc_end117-_ZN9rocsparseL22gebsrmvn_mxn_16_kernelILj60ELj10ELj6E21rocsparse_complex_numIdEEEvi20rocsparse_direction_NS_24const_host_device_scalarIT2_EEPKiS8_PKS5_iiSA_S6_PS5_21rocsparse_index_base_b
                                        ; -- End function
	.set _ZN9rocsparseL22gebsrmvn_mxn_16_kernelILj60ELj10ELj6E21rocsparse_complex_numIdEEEvi20rocsparse_direction_NS_24const_host_device_scalarIT2_EEPKiS8_PKS5_iiSA_S6_PS5_21rocsparse_index_base_b.num_vgpr, 28
	.set _ZN9rocsparseL22gebsrmvn_mxn_16_kernelILj60ELj10ELj6E21rocsparse_complex_numIdEEEvi20rocsparse_direction_NS_24const_host_device_scalarIT2_EEPKiS8_PKS5_iiSA_S6_PS5_21rocsparse_index_base_b.num_agpr, 0
	.set _ZN9rocsparseL22gebsrmvn_mxn_16_kernelILj60ELj10ELj6E21rocsparse_complex_numIdEEEvi20rocsparse_direction_NS_24const_host_device_scalarIT2_EEPKiS8_PKS5_iiSA_S6_PS5_21rocsparse_index_base_b.numbered_sgpr, 18
	.set _ZN9rocsparseL22gebsrmvn_mxn_16_kernelILj60ELj10ELj6E21rocsparse_complex_numIdEEEvi20rocsparse_direction_NS_24const_host_device_scalarIT2_EEPKiS8_PKS5_iiSA_S6_PS5_21rocsparse_index_base_b.num_named_barrier, 0
	.set _ZN9rocsparseL22gebsrmvn_mxn_16_kernelILj60ELj10ELj6E21rocsparse_complex_numIdEEEvi20rocsparse_direction_NS_24const_host_device_scalarIT2_EEPKiS8_PKS5_iiSA_S6_PS5_21rocsparse_index_base_b.private_seg_size, 0
	.set _ZN9rocsparseL22gebsrmvn_mxn_16_kernelILj60ELj10ELj6E21rocsparse_complex_numIdEEEvi20rocsparse_direction_NS_24const_host_device_scalarIT2_EEPKiS8_PKS5_iiSA_S6_PS5_21rocsparse_index_base_b.uses_vcc, 1
	.set _ZN9rocsparseL22gebsrmvn_mxn_16_kernelILj60ELj10ELj6E21rocsparse_complex_numIdEEEvi20rocsparse_direction_NS_24const_host_device_scalarIT2_EEPKiS8_PKS5_iiSA_S6_PS5_21rocsparse_index_base_b.uses_flat_scratch, 0
	.set _ZN9rocsparseL22gebsrmvn_mxn_16_kernelILj60ELj10ELj6E21rocsparse_complex_numIdEEEvi20rocsparse_direction_NS_24const_host_device_scalarIT2_EEPKiS8_PKS5_iiSA_S6_PS5_21rocsparse_index_base_b.has_dyn_sized_stack, 0
	.set _ZN9rocsparseL22gebsrmvn_mxn_16_kernelILj60ELj10ELj6E21rocsparse_complex_numIdEEEvi20rocsparse_direction_NS_24const_host_device_scalarIT2_EEPKiS8_PKS5_iiSA_S6_PS5_21rocsparse_index_base_b.has_recursion, 0
	.set _ZN9rocsparseL22gebsrmvn_mxn_16_kernelILj60ELj10ELj6E21rocsparse_complex_numIdEEEvi20rocsparse_direction_NS_24const_host_device_scalarIT2_EEPKiS8_PKS5_iiSA_S6_PS5_21rocsparse_index_base_b.has_indirect_call, 0
	.section	.AMDGPU.csdata,"",@progbits
; Kernel info:
; codeLenInByte = 1308
; TotalNumSgprs: 22
; NumVgprs: 28
; ScratchSize: 0
; MemoryBound: 0
; FloatMode: 240
; IeeeMode: 1
; LDSByteSize: 960 bytes/workgroup (compile time only)
; SGPRBlocks: 2
; VGPRBlocks: 6
; NumSGPRsForWavesPerEU: 22
; NumVGPRsForWavesPerEU: 28
; Occupancy: 9
; WaveLimiterHint : 1
; COMPUTE_PGM_RSRC2:SCRATCH_EN: 0
; COMPUTE_PGM_RSRC2:USER_SGPR: 6
; COMPUTE_PGM_RSRC2:TRAP_HANDLER: 0
; COMPUTE_PGM_RSRC2:TGID_X_EN: 1
; COMPUTE_PGM_RSRC2:TGID_Y_EN: 0
; COMPUTE_PGM_RSRC2:TGID_Z_EN: 0
; COMPUTE_PGM_RSRC2:TIDIG_COMP_CNT: 0
	.section	.text._ZN9rocsparseL22gebsrmvn_mxn_16_kernelILj70ELj10ELj7E21rocsparse_complex_numIdEEEvi20rocsparse_direction_NS_24const_host_device_scalarIT2_EEPKiS8_PKS5_iiSA_S6_PS5_21rocsparse_index_base_b,"axG",@progbits,_ZN9rocsparseL22gebsrmvn_mxn_16_kernelILj70ELj10ELj7E21rocsparse_complex_numIdEEEvi20rocsparse_direction_NS_24const_host_device_scalarIT2_EEPKiS8_PKS5_iiSA_S6_PS5_21rocsparse_index_base_b,comdat
	.globl	_ZN9rocsparseL22gebsrmvn_mxn_16_kernelILj70ELj10ELj7E21rocsparse_complex_numIdEEEvi20rocsparse_direction_NS_24const_host_device_scalarIT2_EEPKiS8_PKS5_iiSA_S6_PS5_21rocsparse_index_base_b ; -- Begin function _ZN9rocsparseL22gebsrmvn_mxn_16_kernelILj70ELj10ELj7E21rocsparse_complex_numIdEEEvi20rocsparse_direction_NS_24const_host_device_scalarIT2_EEPKiS8_PKS5_iiSA_S6_PS5_21rocsparse_index_base_b
	.p2align	8
	.type	_ZN9rocsparseL22gebsrmvn_mxn_16_kernelILj70ELj10ELj7E21rocsparse_complex_numIdEEEvi20rocsparse_direction_NS_24const_host_device_scalarIT2_EEPKiS8_PKS5_iiSA_S6_PS5_21rocsparse_index_base_b,@function
_ZN9rocsparseL22gebsrmvn_mxn_16_kernelILj70ELj10ELj7E21rocsparse_complex_numIdEEEvi20rocsparse_direction_NS_24const_host_device_scalarIT2_EEPKiS8_PKS5_iiSA_S6_PS5_21rocsparse_index_base_b: ; @_ZN9rocsparseL22gebsrmvn_mxn_16_kernelILj70ELj10ELj7E21rocsparse_complex_numIdEEEvi20rocsparse_direction_NS_24const_host_device_scalarIT2_EEPKiS8_PKS5_iiSA_S6_PS5_21rocsparse_index_base_b
; %bb.0:
	s_load_dwordx2 s[0:1], s[4:5], 0x8
	s_load_dwordx2 s[2:3], s[4:5], 0x40
	;; [unrolled: 1-line block ×3, first 2 shown]
	s_add_u32 s7, s4, 8
	s_addc_u32 s8, s5, 0
	s_add_u32 s9, s4, 64
	s_addc_u32 s12, s5, 0
	s_waitcnt lgkmcnt(0)
	s_bitcmp1_b32 s11, 0
	s_cselect_b32 s1, s8, s1
	s_cselect_b32 s0, s7, s0
	v_mov_b32_e32 v1, s0
	v_mov_b32_e32 v2, s1
	flat_load_dwordx4 v[5:8], v[1:2]
	s_cselect_b32 s0, s12, s3
	s_cselect_b32 s1, s9, s2
	v_mov_b32_e32 v1, s1
	v_mov_b32_e32 v2, s0
	flat_load_dwordx4 v[1:4], v[1:2]
	s_waitcnt vmcnt(0) lgkmcnt(0)
	v_cmp_eq_f64_e32 vcc, 0, v[5:6]
	v_cmp_eq_f64_e64 s[0:1], 0, v[7:8]
	s_and_b64 s[8:9], vcc, s[0:1]
	s_mov_b64 s[0:1], -1
	s_and_saveexec_b64 s[2:3], s[8:9]
	s_cbranch_execz .LBB118_2
; %bb.1:
	v_cmp_neq_f64_e32 vcc, 1.0, v[1:2]
	v_cmp_neq_f64_e64 s[0:1], 0, v[3:4]
	s_or_b64 s[0:1], vcc, s[0:1]
	s_orn2_b64 s[0:1], s[0:1], exec
.LBB118_2:
	s_or_b64 exec, exec, s[2:3]
	s_and_saveexec_b64 s[2:3], s[0:1]
	s_cbranch_execz .LBB118_35
; %bb.3:
	s_load_dwordx2 s[0:1], s[4:5], 0x18
	s_load_dword s2, s[4:5], 0x4
	v_mul_u32_u24_e32 v10, 0x2493, v0
	v_mov_b32_e32 v9, 7
	v_mul_lo_u16_sdwa v10, v10, v9 dst_sel:DWORD dst_unused:UNUSED_PAD src0_sel:WORD_1 src1_sel:DWORD
	v_sub_u16_e32 v18, v0, v10
	s_waitcnt lgkmcnt(0)
	s_cmp_lg_u32 s2, 1
	s_cselect_b64 s[12:13], -1, 0
	s_and_b64 vcc, exec, s[12:13]
	v_mov_b32_e32 v13, v18
	s_cbranch_vccnz .LBB118_5
; %bb.4:
	s_movk_i32 s2, 0x199a
	v_mul_u32_u24_sdwa v10, v0, s2 dst_sel:DWORD dst_unused:UNUSED_PAD src0_sel:WORD_0 src1_sel:DWORD
	v_mov_b32_e32 v11, 37
	v_mul_lo_u16_sdwa v11, v10, v11 dst_sel:DWORD dst_unused:UNUSED_PAD src0_sel:WORD_1 src1_sel:DWORD
	v_mul_lo_u16_sdwa v9, v11, v9 dst_sel:DWORD dst_unused:UNUSED_PAD src0_sel:BYTE_1 src1_sel:DWORD
	v_sub_u16_sdwa v9, v10, v9 dst_sel:DWORD dst_unused:UNUSED_PAD src0_sel:WORD_1 src1_sel:DWORD
	v_and_b32_e32 v13, 0xff, v9
.LBB118_5:
	s_ashr_i32 s7, s6, 31
	s_lshl_b64 s[2:3], s[6:7], 2
	s_add_u32 s0, s0, s2
	s_addc_u32 s1, s1, s3
	s_load_dwordx2 s[16:17], s[0:1], 0x0
	s_load_dwordx2 s[8:9], s[4:5], 0x50
	v_mov_b32_e32 v11, 0
	v_mov_b32_e32 v9, 0
	v_mov_b32_e32 v12, 0
	s_waitcnt lgkmcnt(0)
	s_cmp_ge_i32 s16, s17
	v_mov_b32_e32 v10, 0
	s_cbranch_scc1 .LBB118_10
; %bb.6:
	s_load_dwordx4 s[0:3], s[4:5], 0x20
	s_load_dwordx2 s[14:15], s[4:5], 0x38
	s_movk_i32 s4, 0x3a9
	v_mul_u32_u24_sdwa v19, v0, s4 dst_sel:DWORD dst_unused:UNUSED_PAD src0_sel:WORD_0 src1_sel:DWORD
	s_mul_i32 s4, s16, 0x46
	v_add_u32_e32 v9, s4, v0
	s_mul_i32 s4, s10, 0x46
	v_mov_b32_e32 v11, 0
	v_subrev_u32_e32 v14, s4, v9
	v_mov_b32_e32 v12, 0
	v_mov_b32_e32 v9, v11
	s_sub_i32 s7, s17, s10
	s_sub_i32 s11, s16, s10
	v_mov_b32_e32 v15, 0
	v_mov_b32_e32 v10, v12
	s_branch .LBB118_8
.LBB118_7:                              ;   in Loop: Header=BB118_8 Depth=1
	s_or_b64 exec, exec, s[4:5]
	s_add_i32 s11, s11, 1
	s_cmp_ge_i32 s11, s7
	v_add_u32_e32 v14, 0x46, v14
	s_cbranch_scc1 .LBB118_10
.LBB118_8:                              ; =>This Inner Loop Header: Depth=1
	v_add_u32_sdwa v16, v19, s11 dst_sel:DWORD dst_unused:UNUSED_PAD src0_sel:WORD_1 src1_sel:DWORD
	v_cmp_gt_i32_e32 vcc, s7, v16
	s_and_saveexec_b64 s[4:5], vcc
	s_cbranch_execz .LBB118_7
; %bb.9:                                ;   in Loop: Header=BB118_8 Depth=1
	v_ashrrev_i32_e32 v17, 31, v16
	v_lshlrev_b64 v[16:17], 2, v[16:17]
	s_waitcnt lgkmcnt(0)
	v_mov_b32_e32 v20, s1
	v_add_co_u32_e32 v16, vcc, s0, v16
	v_addc_co_u32_e32 v17, vcc, v20, v17, vcc
	global_load_dword v20, v[16:17], off
	v_lshlrev_b64 v[16:17], 4, v[14:15]
	v_mov_b32_e32 v21, s3
	v_add_co_u32_e32 v16, vcc, s2, v16
	v_addc_co_u32_e32 v17, vcc, v21, v17, vcc
	v_mov_b32_e32 v26, s15
	s_waitcnt vmcnt(0)
	v_subrev_u32_e32 v20, s10, v20
	v_mad_u64_u32 v[24:25], s[16:17], v20, 7, v[13:14]
	global_load_dwordx4 v[20:23], v[16:17], off
	v_ashrrev_i32_e32 v25, 31, v24
	v_lshlrev_b64 v[16:17], 4, v[24:25]
	v_add_co_u32_e32 v16, vcc, s14, v16
	v_addc_co_u32_e32 v17, vcc, v26, v17, vcc
	global_load_dwordx4 v[24:27], v[16:17], off
	s_waitcnt vmcnt(0)
	v_fma_f64 v[9:10], v[20:21], v[24:25], v[9:10]
	v_fma_f64 v[11:12], v[22:23], v[24:25], v[11:12]
	v_fma_f64 v[9:10], -v[22:23], v[26:27], v[9:10]
	v_fma_f64 v[11:12], v[20:21], v[26:27], v[11:12]
	s_branch .LBB118_7
.LBB118_10:
	v_lshlrev_b32_e32 v17, 4, v0
	s_and_b64 vcc, exec, s[12:13]
	ds_write_b128 v17, v[9:12]
	s_waitcnt lgkmcnt(0)
	s_barrier
	s_cbranch_vccz .LBB118_20
; %bb.11:
	v_cmp_gt_u16_e32 vcc, 3, v18
	s_and_saveexec_b64 s[0:1], vcc
	s_cbranch_execz .LBB118_13
; %bb.12:
	ds_read_b128 v[13:16], v17 offset:64
	ds_read_b128 v[19:22], v17
	s_waitcnt lgkmcnt(0)
	v_add_f64 v[13:14], v[13:14], v[19:20]
	v_add_f64 v[15:16], v[15:16], v[21:22]
	ds_write_b128 v17, v[13:16]
.LBB118_13:
	s_or_b64 exec, exec, s[0:1]
	v_cmp_gt_u16_e32 vcc, 2, v18
	s_waitcnt lgkmcnt(0)
	s_barrier
	s_and_saveexec_b64 s[0:1], vcc
	s_cbranch_execz .LBB118_15
; %bb.14:
	ds_read_b128 v[13:16], v17
	ds_read_b128 v[19:22], v17 offset:32
	s_waitcnt lgkmcnt(0)
	v_add_f64 v[13:14], v[19:20], v[13:14]
	v_add_f64 v[15:16], v[21:22], v[15:16]
	ds_write_b128 v17, v[13:16]
.LBB118_15:
	s_or_b64 exec, exec, s[0:1]
	v_cmp_eq_u16_e32 vcc, 0, v18
	s_waitcnt lgkmcnt(0)
	s_barrier
	s_and_saveexec_b64 s[0:1], vcc
	s_cbranch_execz .LBB118_17
; %bb.16:
	ds_read_b128 v[13:16], v17
	ds_read_b128 v[18:21], v17 offset:16
	s_waitcnt lgkmcnt(0)
	v_add_f64 v[13:14], v[18:19], v[13:14]
	v_add_f64 v[15:16], v[20:21], v[15:16]
	ds_write_b128 v17, v[13:16]
.LBB118_17:
	s_or_b64 exec, exec, s[0:1]
	v_mov_b32_e32 v16, v12
	v_mov_b32_e32 v14, v10
	v_cmp_gt_u32_e32 vcc, 10, v0
	v_mov_b32_e32 v15, v11
	v_mov_b32_e32 v13, v9
	s_waitcnt lgkmcnt(0)
	s_barrier
	s_and_saveexec_b64 s[0:1], vcc
; %bb.18:
	s_movk_i32 s2, 0x60
	v_mad_u32_u24 v13, v0, s2, v17
	ds_read_b128 v[13:16], v13
; %bb.19:
	s_or_b64 exec, exec, s[0:1]
	s_branch .LBB118_30
.LBB118_20:
                                        ; implicit-def: $vgpr15_vgpr16
	s_cbranch_execz .LBB118_30
; %bb.21:
	v_cmp_gt_u32_e32 vcc, 30, v0
	s_and_saveexec_b64 s[0:1], vcc
	s_cbranch_execz .LBB118_23
; %bb.22:
	s_waitcnt lgkmcnt(0)
	ds_read_b128 v[13:16], v17 offset:640
	ds_read_b128 v[18:21], v17
	s_waitcnt lgkmcnt(0)
	v_add_f64 v[13:14], v[13:14], v[18:19]
	v_add_f64 v[15:16], v[15:16], v[20:21]
	ds_write_b128 v17, v[13:16]
.LBB118_23:
	s_or_b64 exec, exec, s[0:1]
	v_cmp_gt_u32_e32 vcc, 20, v0
	s_waitcnt lgkmcnt(0)
	s_barrier
	s_and_saveexec_b64 s[0:1], vcc
	s_cbranch_execz .LBB118_25
; %bb.24:
	ds_read_b128 v[13:16], v17 offset:320
	ds_read_b128 v[18:21], v17
	s_waitcnt lgkmcnt(0)
	v_add_f64 v[13:14], v[13:14], v[18:19]
	v_add_f64 v[15:16], v[15:16], v[20:21]
	ds_write_b128 v17, v[13:16]
.LBB118_25:
	s_or_b64 exec, exec, s[0:1]
	v_cmp_lt_u32_e32 vcc, 9, v0
	s_waitcnt lgkmcnt(0)
	s_and_saveexec_b64 s[0:1], vcc
	s_xor_b64 s[0:1], exec, s[0:1]
; %bb.26:
                                        ; implicit-def: $vgpr17
; %bb.27:
	s_andn2_saveexec_b64 s[0:1], s[0:1]
	s_cbranch_execz .LBB118_29
; %bb.28:
	ds_read_b128 v[9:12], v17 offset:160
	ds_read_b128 v[13:16], v17
	s_waitcnt lgkmcnt(0)
	v_add_f64 v[9:10], v[9:10], v[13:14]
	v_add_f64 v[11:12], v[11:12], v[15:16]
	ds_write_b128 v17, v[9:12]
	s_waitcnt lgkmcnt(0)
	ds_read_b128 v[9:12], v17
.LBB118_29:
	s_or_b64 exec, exec, s[0:1]
	s_waitcnt lgkmcnt(0)
	v_mov_b32_e32 v16, v12
	v_mov_b32_e32 v14, v10
	;; [unrolled: 1-line block ×4, first 2 shown]
.LBB118_30:
	v_cmp_gt_u32_e32 vcc, 10, v0
	s_and_b64 exec, exec, vcc
	s_cbranch_execz .LBB118_35
; %bb.31:
	s_waitcnt lgkmcnt(0)
	v_mul_f64 v[9:10], v[15:16], -v[7:8]
	v_mul_f64 v[11:12], v[5:6], v[15:16]
	v_cmp_eq_f64_e32 vcc, 0, v[1:2]
	v_cmp_eq_f64_e64 s[0:1], 0, v[3:4]
	v_fma_f64 v[5:6], v[5:6], v[13:14], v[9:10]
	v_fma_f64 v[7:8], v[7:8], v[13:14], v[11:12]
	s_and_b64 s[0:1], vcc, s[0:1]
	s_and_saveexec_b64 s[2:3], s[0:1]
	s_xor_b64 s[0:1], exec, s[2:3]
	s_cbranch_execz .LBB118_33
; %bb.32:
	v_mad_u64_u32 v[0:1], s[2:3], s6, 10, v[0:1]
	v_mov_b32_e32 v1, 0
	v_mov_b32_e32 v2, s9
	v_lshlrev_b64 v[0:1], 4, v[0:1]
	v_add_co_u32_e32 v0, vcc, s8, v0
	v_addc_co_u32_e32 v1, vcc, v2, v1, vcc
	global_store_dwordx4 v[0:1], v[5:8], off
                                        ; implicit-def: $vgpr0
                                        ; implicit-def: $vgpr1_vgpr2
                                        ; implicit-def: $vgpr5_vgpr6
.LBB118_33:
	s_andn2_saveexec_b64 s[0:1], s[0:1]
	s_cbranch_execz .LBB118_35
; %bb.34:
	v_mad_u64_u32 v[9:10], s[0:1], s6, 10, v[0:1]
	v_mov_b32_e32 v10, 0
	v_mov_b32_e32 v0, s9
	v_lshlrev_b64 v[9:10], 4, v[9:10]
	v_add_co_u32_e32 v13, vcc, s8, v9
	v_addc_co_u32_e32 v14, vcc, v0, v10, vcc
	global_load_dwordx4 v[9:12], v[13:14], off
	s_waitcnt vmcnt(0)
	v_fma_f64 v[5:6], v[1:2], v[9:10], v[5:6]
	v_fma_f64 v[7:8], v[3:4], v[9:10], v[7:8]
	v_fma_f64 v[3:4], -v[3:4], v[11:12], v[5:6]
	v_fma_f64 v[5:6], v[1:2], v[11:12], v[7:8]
	global_store_dwordx4 v[13:14], v[3:6], off
.LBB118_35:
	s_endpgm
	.section	.rodata,"a",@progbits
	.p2align	6, 0x0
	.amdhsa_kernel _ZN9rocsparseL22gebsrmvn_mxn_16_kernelILj70ELj10ELj7E21rocsparse_complex_numIdEEEvi20rocsparse_direction_NS_24const_host_device_scalarIT2_EEPKiS8_PKS5_iiSA_S6_PS5_21rocsparse_index_base_b
		.amdhsa_group_segment_fixed_size 1120
		.amdhsa_private_segment_fixed_size 0
		.amdhsa_kernarg_size 96
		.amdhsa_user_sgpr_count 6
		.amdhsa_user_sgpr_private_segment_buffer 1
		.amdhsa_user_sgpr_dispatch_ptr 0
		.amdhsa_user_sgpr_queue_ptr 0
		.amdhsa_user_sgpr_kernarg_segment_ptr 1
		.amdhsa_user_sgpr_dispatch_id 0
		.amdhsa_user_sgpr_flat_scratch_init 0
		.amdhsa_user_sgpr_private_segment_size 0
		.amdhsa_uses_dynamic_stack 0
		.amdhsa_system_sgpr_private_segment_wavefront_offset 0
		.amdhsa_system_sgpr_workgroup_id_x 1
		.amdhsa_system_sgpr_workgroup_id_y 0
		.amdhsa_system_sgpr_workgroup_id_z 0
		.amdhsa_system_sgpr_workgroup_info 0
		.amdhsa_system_vgpr_workitem_id 0
		.amdhsa_next_free_vgpr 28
		.amdhsa_next_free_sgpr 18
		.amdhsa_reserve_vcc 1
		.amdhsa_reserve_flat_scratch 0
		.amdhsa_float_round_mode_32 0
		.amdhsa_float_round_mode_16_64 0
		.amdhsa_float_denorm_mode_32 3
		.amdhsa_float_denorm_mode_16_64 3
		.amdhsa_dx10_clamp 1
		.amdhsa_ieee_mode 1
		.amdhsa_fp16_overflow 0
		.amdhsa_exception_fp_ieee_invalid_op 0
		.amdhsa_exception_fp_denorm_src 0
		.amdhsa_exception_fp_ieee_div_zero 0
		.amdhsa_exception_fp_ieee_overflow 0
		.amdhsa_exception_fp_ieee_underflow 0
		.amdhsa_exception_fp_ieee_inexact 0
		.amdhsa_exception_int_div_zero 0
	.end_amdhsa_kernel
	.section	.text._ZN9rocsparseL22gebsrmvn_mxn_16_kernelILj70ELj10ELj7E21rocsparse_complex_numIdEEEvi20rocsparse_direction_NS_24const_host_device_scalarIT2_EEPKiS8_PKS5_iiSA_S6_PS5_21rocsparse_index_base_b,"axG",@progbits,_ZN9rocsparseL22gebsrmvn_mxn_16_kernelILj70ELj10ELj7E21rocsparse_complex_numIdEEEvi20rocsparse_direction_NS_24const_host_device_scalarIT2_EEPKiS8_PKS5_iiSA_S6_PS5_21rocsparse_index_base_b,comdat
.Lfunc_end118:
	.size	_ZN9rocsparseL22gebsrmvn_mxn_16_kernelILj70ELj10ELj7E21rocsparse_complex_numIdEEEvi20rocsparse_direction_NS_24const_host_device_scalarIT2_EEPKiS8_PKS5_iiSA_S6_PS5_21rocsparse_index_base_b, .Lfunc_end118-_ZN9rocsparseL22gebsrmvn_mxn_16_kernelILj70ELj10ELj7E21rocsparse_complex_numIdEEEvi20rocsparse_direction_NS_24const_host_device_scalarIT2_EEPKiS8_PKS5_iiSA_S6_PS5_21rocsparse_index_base_b
                                        ; -- End function
	.set _ZN9rocsparseL22gebsrmvn_mxn_16_kernelILj70ELj10ELj7E21rocsparse_complex_numIdEEEvi20rocsparse_direction_NS_24const_host_device_scalarIT2_EEPKiS8_PKS5_iiSA_S6_PS5_21rocsparse_index_base_b.num_vgpr, 28
	.set _ZN9rocsparseL22gebsrmvn_mxn_16_kernelILj70ELj10ELj7E21rocsparse_complex_numIdEEEvi20rocsparse_direction_NS_24const_host_device_scalarIT2_EEPKiS8_PKS5_iiSA_S6_PS5_21rocsparse_index_base_b.num_agpr, 0
	.set _ZN9rocsparseL22gebsrmvn_mxn_16_kernelILj70ELj10ELj7E21rocsparse_complex_numIdEEEvi20rocsparse_direction_NS_24const_host_device_scalarIT2_EEPKiS8_PKS5_iiSA_S6_PS5_21rocsparse_index_base_b.numbered_sgpr, 18
	.set _ZN9rocsparseL22gebsrmvn_mxn_16_kernelILj70ELj10ELj7E21rocsparse_complex_numIdEEEvi20rocsparse_direction_NS_24const_host_device_scalarIT2_EEPKiS8_PKS5_iiSA_S6_PS5_21rocsparse_index_base_b.num_named_barrier, 0
	.set _ZN9rocsparseL22gebsrmvn_mxn_16_kernelILj70ELj10ELj7E21rocsparse_complex_numIdEEEvi20rocsparse_direction_NS_24const_host_device_scalarIT2_EEPKiS8_PKS5_iiSA_S6_PS5_21rocsparse_index_base_b.private_seg_size, 0
	.set _ZN9rocsparseL22gebsrmvn_mxn_16_kernelILj70ELj10ELj7E21rocsparse_complex_numIdEEEvi20rocsparse_direction_NS_24const_host_device_scalarIT2_EEPKiS8_PKS5_iiSA_S6_PS5_21rocsparse_index_base_b.uses_vcc, 1
	.set _ZN9rocsparseL22gebsrmvn_mxn_16_kernelILj70ELj10ELj7E21rocsparse_complex_numIdEEEvi20rocsparse_direction_NS_24const_host_device_scalarIT2_EEPKiS8_PKS5_iiSA_S6_PS5_21rocsparse_index_base_b.uses_flat_scratch, 0
	.set _ZN9rocsparseL22gebsrmvn_mxn_16_kernelILj70ELj10ELj7E21rocsparse_complex_numIdEEEvi20rocsparse_direction_NS_24const_host_device_scalarIT2_EEPKiS8_PKS5_iiSA_S6_PS5_21rocsparse_index_base_b.has_dyn_sized_stack, 0
	.set _ZN9rocsparseL22gebsrmvn_mxn_16_kernelILj70ELj10ELj7E21rocsparse_complex_numIdEEEvi20rocsparse_direction_NS_24const_host_device_scalarIT2_EEPKiS8_PKS5_iiSA_S6_PS5_21rocsparse_index_base_b.has_recursion, 0
	.set _ZN9rocsparseL22gebsrmvn_mxn_16_kernelILj70ELj10ELj7E21rocsparse_complex_numIdEEEvi20rocsparse_direction_NS_24const_host_device_scalarIT2_EEPKiS8_PKS5_iiSA_S6_PS5_21rocsparse_index_base_b.has_indirect_call, 0
	.section	.AMDGPU.csdata,"",@progbits
; Kernel info:
; codeLenInByte = 1348
; TotalNumSgprs: 22
; NumVgprs: 28
; ScratchSize: 0
; MemoryBound: 0
; FloatMode: 240
; IeeeMode: 1
; LDSByteSize: 1120 bytes/workgroup (compile time only)
; SGPRBlocks: 2
; VGPRBlocks: 6
; NumSGPRsForWavesPerEU: 22
; NumVGPRsForWavesPerEU: 28
; Occupancy: 9
; WaveLimiterHint : 1
; COMPUTE_PGM_RSRC2:SCRATCH_EN: 0
; COMPUTE_PGM_RSRC2:USER_SGPR: 6
; COMPUTE_PGM_RSRC2:TRAP_HANDLER: 0
; COMPUTE_PGM_RSRC2:TGID_X_EN: 1
; COMPUTE_PGM_RSRC2:TGID_Y_EN: 0
; COMPUTE_PGM_RSRC2:TGID_Z_EN: 0
; COMPUTE_PGM_RSRC2:TIDIG_COMP_CNT: 0
	.section	.text._ZN9rocsparseL22gebsrmvn_mxn_16_kernelILj80ELj10ELj8E21rocsparse_complex_numIdEEEvi20rocsparse_direction_NS_24const_host_device_scalarIT2_EEPKiS8_PKS5_iiSA_S6_PS5_21rocsparse_index_base_b,"axG",@progbits,_ZN9rocsparseL22gebsrmvn_mxn_16_kernelILj80ELj10ELj8E21rocsparse_complex_numIdEEEvi20rocsparse_direction_NS_24const_host_device_scalarIT2_EEPKiS8_PKS5_iiSA_S6_PS5_21rocsparse_index_base_b,comdat
	.globl	_ZN9rocsparseL22gebsrmvn_mxn_16_kernelILj80ELj10ELj8E21rocsparse_complex_numIdEEEvi20rocsparse_direction_NS_24const_host_device_scalarIT2_EEPKiS8_PKS5_iiSA_S6_PS5_21rocsparse_index_base_b ; -- Begin function _ZN9rocsparseL22gebsrmvn_mxn_16_kernelILj80ELj10ELj8E21rocsparse_complex_numIdEEEvi20rocsparse_direction_NS_24const_host_device_scalarIT2_EEPKiS8_PKS5_iiSA_S6_PS5_21rocsparse_index_base_b
	.p2align	8
	.type	_ZN9rocsparseL22gebsrmvn_mxn_16_kernelILj80ELj10ELj8E21rocsparse_complex_numIdEEEvi20rocsparse_direction_NS_24const_host_device_scalarIT2_EEPKiS8_PKS5_iiSA_S6_PS5_21rocsparse_index_base_b,@function
_ZN9rocsparseL22gebsrmvn_mxn_16_kernelILj80ELj10ELj8E21rocsparse_complex_numIdEEEvi20rocsparse_direction_NS_24const_host_device_scalarIT2_EEPKiS8_PKS5_iiSA_S6_PS5_21rocsparse_index_base_b: ; @_ZN9rocsparseL22gebsrmvn_mxn_16_kernelILj80ELj10ELj8E21rocsparse_complex_numIdEEEvi20rocsparse_direction_NS_24const_host_device_scalarIT2_EEPKiS8_PKS5_iiSA_S6_PS5_21rocsparse_index_base_b
; %bb.0:
	s_load_dwordx2 s[0:1], s[4:5], 0x8
	s_load_dwordx2 s[2:3], s[4:5], 0x40
	;; [unrolled: 1-line block ×3, first 2 shown]
	s_add_u32 s7, s4, 8
	s_addc_u32 s8, s5, 0
	s_add_u32 s9, s4, 64
	s_addc_u32 s12, s5, 0
	s_waitcnt lgkmcnt(0)
	s_bitcmp1_b32 s11, 0
	s_cselect_b32 s1, s8, s1
	s_cselect_b32 s0, s7, s0
	v_mov_b32_e32 v1, s0
	v_mov_b32_e32 v2, s1
	flat_load_dwordx4 v[5:8], v[1:2]
	s_cselect_b32 s0, s12, s3
	s_cselect_b32 s1, s9, s2
	v_mov_b32_e32 v1, s1
	v_mov_b32_e32 v2, s0
	flat_load_dwordx4 v[1:4], v[1:2]
	s_waitcnt vmcnt(0) lgkmcnt(0)
	v_cmp_eq_f64_e32 vcc, 0, v[5:6]
	v_cmp_eq_f64_e64 s[0:1], 0, v[7:8]
	s_and_b64 s[8:9], vcc, s[0:1]
	s_mov_b64 s[0:1], -1
	s_and_saveexec_b64 s[2:3], s[8:9]
	s_cbranch_execz .LBB119_2
; %bb.1:
	v_cmp_neq_f64_e32 vcc, 1.0, v[1:2]
	v_cmp_neq_f64_e64 s[0:1], 0, v[3:4]
	s_or_b64 s[0:1], vcc, s[0:1]
	s_orn2_b64 s[0:1], s[0:1], exec
.LBB119_2:
	s_or_b64 exec, exec, s[2:3]
	s_and_saveexec_b64 s[2:3], s[0:1]
	s_cbranch_execz .LBB119_35
; %bb.3:
	s_load_dword s2, s[4:5], 0x4
	s_load_dwordx2 s[0:1], s[4:5], 0x18
	v_and_b32_e32 v18, 7, v0
	v_mov_b32_e32 v17, v18
	s_waitcnt lgkmcnt(0)
	s_cmp_lg_u32 s2, 1
	s_cselect_b64 s[12:13], -1, 0
	s_and_b64 vcc, exec, s[12:13]
	s_cbranch_vccnz .LBB119_5
; %bb.4:
	v_mul_u32_u24_e32 v9, 0x199a, v0
	v_bfe_u32 v17, v9, 16, 3
.LBB119_5:
	s_ashr_i32 s7, s6, 31
	s_lshl_b64 s[2:3], s[6:7], 2
	s_add_u32 s0, s0, s2
	s_addc_u32 s1, s1, s3
	s_load_dwordx2 s[16:17], s[0:1], 0x0
	s_load_dwordx2 s[8:9], s[4:5], 0x50
	v_mov_b32_e32 v11, 0
	v_mov_b32_e32 v9, 0
	;; [unrolled: 1-line block ×3, first 2 shown]
	s_waitcnt lgkmcnt(0)
	s_cmp_ge_i32 s16, s17
	v_mov_b32_e32 v10, 0
	s_cbranch_scc1 .LBB119_10
; %bb.6:
	s_load_dwordx4 s[0:3], s[4:5], 0x20
	s_load_dwordx2 s[14:15], s[4:5], 0x38
	s_mul_i32 s4, s16, 0x50
	v_add_u32_e32 v9, s4, v0
	s_mul_i32 s4, s10, 0x50
	v_mov_b32_e32 v11, 0
	v_subrev_u32_e32 v13, s4, v9
	v_mov_b32_e32 v12, 0
	v_mov_b32_e32 v9, v11
	s_sub_i32 s7, s17, s10
	s_sub_i32 s11, s16, s10
	v_mul_u32_u24_e32 v19, 0x334, v0
	v_mov_b32_e32 v14, 0
	v_mov_b32_e32 v10, v12
	s_branch .LBB119_8
.LBB119_7:                              ;   in Loop: Header=BB119_8 Depth=1
	s_or_b64 exec, exec, s[4:5]
	s_add_i32 s11, s11, 1
	s_cmp_ge_i32 s11, s7
	v_add_u32_e32 v13, 0x50, v13
	s_cbranch_scc1 .LBB119_10
.LBB119_8:                              ; =>This Inner Loop Header: Depth=1
	v_add_u32_sdwa v15, v19, s11 dst_sel:DWORD dst_unused:UNUSED_PAD src0_sel:WORD_1 src1_sel:DWORD
	v_cmp_gt_i32_e32 vcc, s7, v15
	s_and_saveexec_b64 s[4:5], vcc
	s_cbranch_execz .LBB119_7
; %bb.9:                                ;   in Loop: Header=BB119_8 Depth=1
	v_ashrrev_i32_e32 v16, 31, v15
	v_lshlrev_b64 v[15:16], 2, v[15:16]
	s_waitcnt lgkmcnt(0)
	v_mov_b32_e32 v20, s1
	v_add_co_u32_e32 v15, vcc, s0, v15
	v_addc_co_u32_e32 v16, vcc, v20, v16, vcc
	global_load_dword v24, v[15:16], off
	v_lshlrev_b64 v[15:16], 4, v[13:14]
	v_mov_b32_e32 v20, s3
	v_add_co_u32_e32 v15, vcc, s2, v15
	v_addc_co_u32_e32 v16, vcc, v20, v16, vcc
	global_load_dwordx4 v[20:23], v[15:16], off
	v_mov_b32_e32 v25, s15
	s_waitcnt vmcnt(1)
	v_subrev_u32_e32 v15, s10, v24
	v_lshl_or_b32 v15, v15, 3, v17
	v_ashrrev_i32_e32 v16, 31, v15
	v_lshlrev_b64 v[15:16], 4, v[15:16]
	v_add_co_u32_e32 v15, vcc, s14, v15
	v_addc_co_u32_e32 v16, vcc, v25, v16, vcc
	global_load_dwordx4 v[24:27], v[15:16], off
	s_waitcnt vmcnt(0)
	v_fma_f64 v[9:10], v[20:21], v[24:25], v[9:10]
	v_fma_f64 v[11:12], v[22:23], v[24:25], v[11:12]
	v_fma_f64 v[9:10], -v[22:23], v[26:27], v[9:10]
	v_fma_f64 v[11:12], v[20:21], v[26:27], v[11:12]
	s_branch .LBB119_7
.LBB119_10:
	v_lshlrev_b32_e32 v17, 4, v0
	s_and_b64 vcc, exec, s[12:13]
	ds_write_b128 v17, v[9:12]
	s_waitcnt lgkmcnt(0)
	s_barrier
	s_cbranch_vccz .LBB119_20
; %bb.11:
	v_cmp_gt_u32_e32 vcc, 4, v18
	s_and_saveexec_b64 s[0:1], vcc
	s_cbranch_execz .LBB119_13
; %bb.12:
	ds_read_b128 v[13:16], v17 offset:64
	ds_read_b128 v[19:22], v17
	s_waitcnt lgkmcnt(0)
	v_add_f64 v[13:14], v[13:14], v[19:20]
	v_add_f64 v[15:16], v[15:16], v[21:22]
	ds_write_b128 v17, v[13:16]
.LBB119_13:
	s_or_b64 exec, exec, s[0:1]
	v_cmp_gt_u32_e32 vcc, 2, v18
	s_waitcnt lgkmcnt(0)
	s_barrier
	s_and_saveexec_b64 s[0:1], vcc
	s_cbranch_execz .LBB119_15
; %bb.14:
	ds_read_b128 v[13:16], v17
	ds_read_b128 v[19:22], v17 offset:32
	s_waitcnt lgkmcnt(0)
	v_add_f64 v[13:14], v[19:20], v[13:14]
	v_add_f64 v[15:16], v[21:22], v[15:16]
	ds_write_b128 v17, v[13:16]
.LBB119_15:
	s_or_b64 exec, exec, s[0:1]
	v_cmp_eq_u32_e32 vcc, 0, v18
	s_waitcnt lgkmcnt(0)
	s_barrier
	s_and_saveexec_b64 s[0:1], vcc
	s_cbranch_execz .LBB119_17
; %bb.16:
	ds_read_b128 v[13:16], v17
	ds_read_b128 v[18:21], v17 offset:16
	s_waitcnt lgkmcnt(0)
	v_add_f64 v[13:14], v[18:19], v[13:14]
	v_add_f64 v[15:16], v[20:21], v[15:16]
	ds_write_b128 v17, v[13:16]
.LBB119_17:
	s_or_b64 exec, exec, s[0:1]
	v_mov_b32_e32 v16, v12
	v_mov_b32_e32 v14, v10
	v_cmp_gt_u32_e32 vcc, 10, v0
	v_mov_b32_e32 v15, v11
	v_mov_b32_e32 v13, v9
	s_waitcnt lgkmcnt(0)
	s_barrier
	s_and_saveexec_b64 s[0:1], vcc
; %bb.18:
	s_movk_i32 s2, 0x70
	v_mad_u32_u24 v13, v0, s2, v17
	ds_read_b128 v[13:16], v13
; %bb.19:
	s_or_b64 exec, exec, s[0:1]
	s_branch .LBB119_30
.LBB119_20:
                                        ; implicit-def: $vgpr15_vgpr16
	s_cbranch_execz .LBB119_30
; %bb.21:
	v_cmp_gt_u32_e32 vcc, 40, v0
	s_and_saveexec_b64 s[0:1], vcc
	s_cbranch_execz .LBB119_23
; %bb.22:
	s_waitcnt lgkmcnt(0)
	ds_read_b128 v[13:16], v17 offset:640
	ds_read_b128 v[18:21], v17
	s_waitcnt lgkmcnt(0)
	v_add_f64 v[13:14], v[13:14], v[18:19]
	v_add_f64 v[15:16], v[15:16], v[20:21]
	ds_write_b128 v17, v[13:16]
.LBB119_23:
	s_or_b64 exec, exec, s[0:1]
	v_cmp_gt_u32_e32 vcc, 20, v0
	s_waitcnt lgkmcnt(0)
	s_barrier
	s_and_saveexec_b64 s[0:1], vcc
	s_cbranch_execz .LBB119_25
; %bb.24:
	ds_read_b128 v[13:16], v17 offset:320
	ds_read_b128 v[18:21], v17
	s_waitcnt lgkmcnt(0)
	v_add_f64 v[13:14], v[13:14], v[18:19]
	v_add_f64 v[15:16], v[15:16], v[20:21]
	ds_write_b128 v17, v[13:16]
.LBB119_25:
	s_or_b64 exec, exec, s[0:1]
	v_cmp_lt_u32_e32 vcc, 9, v0
	s_waitcnt lgkmcnt(0)
	s_and_saveexec_b64 s[0:1], vcc
	s_xor_b64 s[0:1], exec, s[0:1]
; %bb.26:
                                        ; implicit-def: $vgpr17
; %bb.27:
	s_andn2_saveexec_b64 s[0:1], s[0:1]
	s_cbranch_execz .LBB119_29
; %bb.28:
	ds_read_b128 v[9:12], v17 offset:160
	ds_read_b128 v[13:16], v17
	s_waitcnt lgkmcnt(0)
	v_add_f64 v[9:10], v[9:10], v[13:14]
	v_add_f64 v[11:12], v[11:12], v[15:16]
	ds_write_b128 v17, v[9:12]
	s_waitcnt lgkmcnt(0)
	ds_read_b128 v[9:12], v17
.LBB119_29:
	s_or_b64 exec, exec, s[0:1]
	s_waitcnt lgkmcnt(0)
	v_mov_b32_e32 v16, v12
	v_mov_b32_e32 v14, v10
	;; [unrolled: 1-line block ×4, first 2 shown]
.LBB119_30:
	v_cmp_gt_u32_e32 vcc, 10, v0
	s_and_b64 exec, exec, vcc
	s_cbranch_execz .LBB119_35
; %bb.31:
	s_waitcnt lgkmcnt(0)
	v_mul_f64 v[9:10], v[15:16], -v[7:8]
	v_mul_f64 v[11:12], v[5:6], v[15:16]
	v_cmp_eq_f64_e32 vcc, 0, v[1:2]
	v_cmp_eq_f64_e64 s[0:1], 0, v[3:4]
	v_fma_f64 v[5:6], v[5:6], v[13:14], v[9:10]
	v_fma_f64 v[7:8], v[7:8], v[13:14], v[11:12]
	s_and_b64 s[0:1], vcc, s[0:1]
	s_and_saveexec_b64 s[2:3], s[0:1]
	s_xor_b64 s[0:1], exec, s[2:3]
	s_cbranch_execz .LBB119_33
; %bb.32:
	v_mad_u64_u32 v[0:1], s[2:3], s6, 10, v[0:1]
	v_mov_b32_e32 v1, 0
	v_mov_b32_e32 v2, s9
	v_lshlrev_b64 v[0:1], 4, v[0:1]
	v_add_co_u32_e32 v0, vcc, s8, v0
	v_addc_co_u32_e32 v1, vcc, v2, v1, vcc
	global_store_dwordx4 v[0:1], v[5:8], off
                                        ; implicit-def: $vgpr0
                                        ; implicit-def: $vgpr1_vgpr2
                                        ; implicit-def: $vgpr5_vgpr6
.LBB119_33:
	s_andn2_saveexec_b64 s[0:1], s[0:1]
	s_cbranch_execz .LBB119_35
; %bb.34:
	v_mad_u64_u32 v[9:10], s[0:1], s6, 10, v[0:1]
	v_mov_b32_e32 v10, 0
	v_mov_b32_e32 v0, s9
	v_lshlrev_b64 v[9:10], 4, v[9:10]
	v_add_co_u32_e32 v13, vcc, s8, v9
	v_addc_co_u32_e32 v14, vcc, v0, v10, vcc
	global_load_dwordx4 v[9:12], v[13:14], off
	s_waitcnt vmcnt(0)
	v_fma_f64 v[5:6], v[1:2], v[9:10], v[5:6]
	v_fma_f64 v[7:8], v[3:4], v[9:10], v[7:8]
	v_fma_f64 v[3:4], -v[3:4], v[11:12], v[5:6]
	v_fma_f64 v[5:6], v[1:2], v[11:12], v[7:8]
	global_store_dwordx4 v[13:14], v[3:6], off
.LBB119_35:
	s_endpgm
	.section	.rodata,"a",@progbits
	.p2align	6, 0x0
	.amdhsa_kernel _ZN9rocsparseL22gebsrmvn_mxn_16_kernelILj80ELj10ELj8E21rocsparse_complex_numIdEEEvi20rocsparse_direction_NS_24const_host_device_scalarIT2_EEPKiS8_PKS5_iiSA_S6_PS5_21rocsparse_index_base_b
		.amdhsa_group_segment_fixed_size 1280
		.amdhsa_private_segment_fixed_size 0
		.amdhsa_kernarg_size 96
		.amdhsa_user_sgpr_count 6
		.amdhsa_user_sgpr_private_segment_buffer 1
		.amdhsa_user_sgpr_dispatch_ptr 0
		.amdhsa_user_sgpr_queue_ptr 0
		.amdhsa_user_sgpr_kernarg_segment_ptr 1
		.amdhsa_user_sgpr_dispatch_id 0
		.amdhsa_user_sgpr_flat_scratch_init 0
		.amdhsa_user_sgpr_private_segment_size 0
		.amdhsa_uses_dynamic_stack 0
		.amdhsa_system_sgpr_private_segment_wavefront_offset 0
		.amdhsa_system_sgpr_workgroup_id_x 1
		.amdhsa_system_sgpr_workgroup_id_y 0
		.amdhsa_system_sgpr_workgroup_id_z 0
		.amdhsa_system_sgpr_workgroup_info 0
		.amdhsa_system_vgpr_workitem_id 0
		.amdhsa_next_free_vgpr 28
		.amdhsa_next_free_sgpr 18
		.amdhsa_reserve_vcc 1
		.amdhsa_reserve_flat_scratch 0
		.amdhsa_float_round_mode_32 0
		.amdhsa_float_round_mode_16_64 0
		.amdhsa_float_denorm_mode_32 3
		.amdhsa_float_denorm_mode_16_64 3
		.amdhsa_dx10_clamp 1
		.amdhsa_ieee_mode 1
		.amdhsa_fp16_overflow 0
		.amdhsa_exception_fp_ieee_invalid_op 0
		.amdhsa_exception_fp_denorm_src 0
		.amdhsa_exception_fp_ieee_div_zero 0
		.amdhsa_exception_fp_ieee_overflow 0
		.amdhsa_exception_fp_ieee_underflow 0
		.amdhsa_exception_fp_ieee_inexact 0
		.amdhsa_exception_int_div_zero 0
	.end_amdhsa_kernel
	.section	.text._ZN9rocsparseL22gebsrmvn_mxn_16_kernelILj80ELj10ELj8E21rocsparse_complex_numIdEEEvi20rocsparse_direction_NS_24const_host_device_scalarIT2_EEPKiS8_PKS5_iiSA_S6_PS5_21rocsparse_index_base_b,"axG",@progbits,_ZN9rocsparseL22gebsrmvn_mxn_16_kernelILj80ELj10ELj8E21rocsparse_complex_numIdEEEvi20rocsparse_direction_NS_24const_host_device_scalarIT2_EEPKiS8_PKS5_iiSA_S6_PS5_21rocsparse_index_base_b,comdat
.Lfunc_end119:
	.size	_ZN9rocsparseL22gebsrmvn_mxn_16_kernelILj80ELj10ELj8E21rocsparse_complex_numIdEEEvi20rocsparse_direction_NS_24const_host_device_scalarIT2_EEPKiS8_PKS5_iiSA_S6_PS5_21rocsparse_index_base_b, .Lfunc_end119-_ZN9rocsparseL22gebsrmvn_mxn_16_kernelILj80ELj10ELj8E21rocsparse_complex_numIdEEEvi20rocsparse_direction_NS_24const_host_device_scalarIT2_EEPKiS8_PKS5_iiSA_S6_PS5_21rocsparse_index_base_b
                                        ; -- End function
	.set _ZN9rocsparseL22gebsrmvn_mxn_16_kernelILj80ELj10ELj8E21rocsparse_complex_numIdEEEvi20rocsparse_direction_NS_24const_host_device_scalarIT2_EEPKiS8_PKS5_iiSA_S6_PS5_21rocsparse_index_base_b.num_vgpr, 28
	.set _ZN9rocsparseL22gebsrmvn_mxn_16_kernelILj80ELj10ELj8E21rocsparse_complex_numIdEEEvi20rocsparse_direction_NS_24const_host_device_scalarIT2_EEPKiS8_PKS5_iiSA_S6_PS5_21rocsparse_index_base_b.num_agpr, 0
	.set _ZN9rocsparseL22gebsrmvn_mxn_16_kernelILj80ELj10ELj8E21rocsparse_complex_numIdEEEvi20rocsparse_direction_NS_24const_host_device_scalarIT2_EEPKiS8_PKS5_iiSA_S6_PS5_21rocsparse_index_base_b.numbered_sgpr, 18
	.set _ZN9rocsparseL22gebsrmvn_mxn_16_kernelILj80ELj10ELj8E21rocsparse_complex_numIdEEEvi20rocsparse_direction_NS_24const_host_device_scalarIT2_EEPKiS8_PKS5_iiSA_S6_PS5_21rocsparse_index_base_b.num_named_barrier, 0
	.set _ZN9rocsparseL22gebsrmvn_mxn_16_kernelILj80ELj10ELj8E21rocsparse_complex_numIdEEEvi20rocsparse_direction_NS_24const_host_device_scalarIT2_EEPKiS8_PKS5_iiSA_S6_PS5_21rocsparse_index_base_b.private_seg_size, 0
	.set _ZN9rocsparseL22gebsrmvn_mxn_16_kernelILj80ELj10ELj8E21rocsparse_complex_numIdEEEvi20rocsparse_direction_NS_24const_host_device_scalarIT2_EEPKiS8_PKS5_iiSA_S6_PS5_21rocsparse_index_base_b.uses_vcc, 1
	.set _ZN9rocsparseL22gebsrmvn_mxn_16_kernelILj80ELj10ELj8E21rocsparse_complex_numIdEEEvi20rocsparse_direction_NS_24const_host_device_scalarIT2_EEPKiS8_PKS5_iiSA_S6_PS5_21rocsparse_index_base_b.uses_flat_scratch, 0
	.set _ZN9rocsparseL22gebsrmvn_mxn_16_kernelILj80ELj10ELj8E21rocsparse_complex_numIdEEEvi20rocsparse_direction_NS_24const_host_device_scalarIT2_EEPKiS8_PKS5_iiSA_S6_PS5_21rocsparse_index_base_b.has_dyn_sized_stack, 0
	.set _ZN9rocsparseL22gebsrmvn_mxn_16_kernelILj80ELj10ELj8E21rocsparse_complex_numIdEEEvi20rocsparse_direction_NS_24const_host_device_scalarIT2_EEPKiS8_PKS5_iiSA_S6_PS5_21rocsparse_index_base_b.has_recursion, 0
	.set _ZN9rocsparseL22gebsrmvn_mxn_16_kernelILj80ELj10ELj8E21rocsparse_complex_numIdEEEvi20rocsparse_direction_NS_24const_host_device_scalarIT2_EEPKiS8_PKS5_iiSA_S6_PS5_21rocsparse_index_base_b.has_indirect_call, 0
	.section	.AMDGPU.csdata,"",@progbits
; Kernel info:
; codeLenInByte = 1292
; TotalNumSgprs: 22
; NumVgprs: 28
; ScratchSize: 0
; MemoryBound: 0
; FloatMode: 240
; IeeeMode: 1
; LDSByteSize: 1280 bytes/workgroup (compile time only)
; SGPRBlocks: 2
; VGPRBlocks: 6
; NumSGPRsForWavesPerEU: 22
; NumVGPRsForWavesPerEU: 28
; Occupancy: 9
; WaveLimiterHint : 1
; COMPUTE_PGM_RSRC2:SCRATCH_EN: 0
; COMPUTE_PGM_RSRC2:USER_SGPR: 6
; COMPUTE_PGM_RSRC2:TRAP_HANDLER: 0
; COMPUTE_PGM_RSRC2:TGID_X_EN: 1
; COMPUTE_PGM_RSRC2:TGID_Y_EN: 0
; COMPUTE_PGM_RSRC2:TGID_Z_EN: 0
; COMPUTE_PGM_RSRC2:TIDIG_COMP_CNT: 0
	.section	.text._ZN9rocsparseL22gebsrmvn_mxn_16_kernelILj55ELj11ELj1E21rocsparse_complex_numIdEEEvi20rocsparse_direction_NS_24const_host_device_scalarIT2_EEPKiS8_PKS5_iiSA_S6_PS5_21rocsparse_index_base_b,"axG",@progbits,_ZN9rocsparseL22gebsrmvn_mxn_16_kernelILj55ELj11ELj1E21rocsparse_complex_numIdEEEvi20rocsparse_direction_NS_24const_host_device_scalarIT2_EEPKiS8_PKS5_iiSA_S6_PS5_21rocsparse_index_base_b,comdat
	.globl	_ZN9rocsparseL22gebsrmvn_mxn_16_kernelILj55ELj11ELj1E21rocsparse_complex_numIdEEEvi20rocsparse_direction_NS_24const_host_device_scalarIT2_EEPKiS8_PKS5_iiSA_S6_PS5_21rocsparse_index_base_b ; -- Begin function _ZN9rocsparseL22gebsrmvn_mxn_16_kernelILj55ELj11ELj1E21rocsparse_complex_numIdEEEvi20rocsparse_direction_NS_24const_host_device_scalarIT2_EEPKiS8_PKS5_iiSA_S6_PS5_21rocsparse_index_base_b
	.p2align	8
	.type	_ZN9rocsparseL22gebsrmvn_mxn_16_kernelILj55ELj11ELj1E21rocsparse_complex_numIdEEEvi20rocsparse_direction_NS_24const_host_device_scalarIT2_EEPKiS8_PKS5_iiSA_S6_PS5_21rocsparse_index_base_b,@function
_ZN9rocsparseL22gebsrmvn_mxn_16_kernelILj55ELj11ELj1E21rocsparse_complex_numIdEEEvi20rocsparse_direction_NS_24const_host_device_scalarIT2_EEPKiS8_PKS5_iiSA_S6_PS5_21rocsparse_index_base_b: ; @_ZN9rocsparseL22gebsrmvn_mxn_16_kernelILj55ELj11ELj1E21rocsparse_complex_numIdEEEvi20rocsparse_direction_NS_24const_host_device_scalarIT2_EEPKiS8_PKS5_iiSA_S6_PS5_21rocsparse_index_base_b
; %bb.0:
	s_load_dwordx2 s[0:1], s[4:5], 0x8
	s_load_dwordx2 s[2:3], s[4:5], 0x40
	;; [unrolled: 1-line block ×3, first 2 shown]
	s_add_u32 s7, s4, 8
	s_addc_u32 s8, s5, 0
	s_add_u32 s9, s4, 64
	s_addc_u32 s12, s5, 0
	s_waitcnt lgkmcnt(0)
	s_bitcmp1_b32 s11, 0
	s_cselect_b32 s1, s8, s1
	s_cselect_b32 s0, s7, s0
	v_mov_b32_e32 v1, s0
	v_mov_b32_e32 v2, s1
	flat_load_dwordx4 v[5:8], v[1:2]
	s_cselect_b32 s0, s12, s3
	s_cselect_b32 s1, s9, s2
	v_mov_b32_e32 v1, s1
	v_mov_b32_e32 v2, s0
	flat_load_dwordx4 v[1:4], v[1:2]
	s_waitcnt vmcnt(0) lgkmcnt(0)
	v_cmp_eq_f64_e32 vcc, 0, v[5:6]
	v_cmp_eq_f64_e64 s[0:1], 0, v[7:8]
	s_and_b64 s[8:9], vcc, s[0:1]
	s_mov_b64 s[0:1], -1
	s_and_saveexec_b64 s[2:3], s[8:9]
	s_cbranch_execz .LBB120_2
; %bb.1:
	v_cmp_neq_f64_e32 vcc, 1.0, v[1:2]
	v_cmp_neq_f64_e64 s[0:1], 0, v[3:4]
	s_or_b64 s[0:1], vcc, s[0:1]
	s_orn2_b64 s[0:1], s[0:1], exec
.LBB120_2:
	s_or_b64 exec, exec, s[2:3]
	s_and_saveexec_b64 s[2:3], s[0:1]
	s_cbranch_execz .LBB120_22
; %bb.3:
	s_load_dwordx2 s[0:1], s[4:5], 0x18
	s_ashr_i32 s7, s6, 31
	s_lshl_b64 s[2:3], s[6:7], 2
	s_waitcnt lgkmcnt(0)
	s_add_u32 s0, s0, s2
	s_addc_u32 s1, s1, s3
	s_load_dwordx2 s[14:15], s[0:1], 0x0
	s_waitcnt lgkmcnt(0)
	s_cmp_lt_i32 s14, s15
	s_cbranch_scc1 .LBB120_5
; %bb.4:
	s_mov_b64 s[0:1], 0
	s_branch .LBB120_6
.LBB120_5:
	s_mov_b64 s[0:1], -1
.LBB120_6:
	s_load_dwordx2 s[8:9], s[4:5], 0x50
	v_mov_b32_e32 v11, 0
	v_mov_b32_e32 v9, 0
	;; [unrolled: 1-line block ×3, first 2 shown]
	s_andn2_b64 vcc, exec, s[0:1]
	v_mov_b32_e32 v10, 0
	s_cbranch_vccnz .LBB120_11
; %bb.7:
	s_load_dwordx4 s[0:3], s[4:5], 0x20
	s_load_dwordx2 s[12:13], s[4:5], 0x38
	v_mad_u64_u32 v[9:10], s[4:5], s14, 11, v[0:1]
	s_mul_i32 s4, s10, 11
	v_mov_b32_e32 v11, 0
	v_subrev_u32_e32 v13, s4, v9
	v_mov_b32_e32 v12, 0
	v_mov_b32_e32 v9, v11
	s_sub_i32 s7, s15, s10
	s_sub_i32 s11, s14, s10
	v_mul_u32_u24_e32 v17, 0x1746, v0
	v_mov_b32_e32 v14, 0
	v_mov_b32_e32 v10, v12
	s_branch .LBB120_9
.LBB120_8:                              ;   in Loop: Header=BB120_9 Depth=1
	s_or_b64 exec, exec, s[4:5]
	s_add_i32 s11, s11, 5
	s_cmp_ge_i32 s11, s7
	v_add_u32_e32 v13, 55, v13
	s_cbranch_scc1 .LBB120_11
.LBB120_9:                              ; =>This Inner Loop Header: Depth=1
	v_add_u32_sdwa v15, v17, s11 dst_sel:DWORD dst_unused:UNUSED_PAD src0_sel:WORD_1 src1_sel:DWORD
	v_cmp_gt_i32_e32 vcc, s7, v15
	s_and_saveexec_b64 s[4:5], vcc
	s_cbranch_execz .LBB120_8
; %bb.10:                               ;   in Loop: Header=BB120_9 Depth=1
	v_ashrrev_i32_e32 v16, 31, v15
	v_lshlrev_b64 v[15:16], 2, v[15:16]
	s_waitcnt lgkmcnt(0)
	v_mov_b32_e32 v18, s1
	v_add_co_u32_e32 v15, vcc, s0, v15
	v_addc_co_u32_e32 v16, vcc, v18, v16, vcc
	global_load_dword v22, v[15:16], off
	v_lshlrev_b64 v[15:16], 4, v[13:14]
	v_mov_b32_e32 v18, s3
	v_add_co_u32_e32 v15, vcc, s2, v15
	v_addc_co_u32_e32 v16, vcc, v18, v16, vcc
	global_load_dwordx4 v[18:21], v[15:16], off
	v_mov_b32_e32 v23, s13
	s_waitcnt vmcnt(1)
	v_subrev_u32_e32 v15, s10, v22
	v_ashrrev_i32_e32 v16, 31, v15
	v_lshlrev_b64 v[15:16], 4, v[15:16]
	v_add_co_u32_e32 v15, vcc, s12, v15
	v_addc_co_u32_e32 v16, vcc, v23, v16, vcc
	global_load_dwordx4 v[22:25], v[15:16], off
	s_waitcnt vmcnt(0)
	v_fma_f64 v[9:10], v[18:19], v[22:23], v[9:10]
	v_fma_f64 v[11:12], v[20:21], v[22:23], v[11:12]
	v_fma_f64 v[9:10], -v[20:21], v[24:25], v[9:10]
	v_fma_f64 v[11:12], v[18:19], v[24:25], v[11:12]
	s_branch .LBB120_8
.LBB120_11:
	v_lshlrev_b32_e32 v13, 4, v0
	v_cmp_gt_u32_e32 vcc, 11, v0
	ds_write_b128 v13, v[9:12]
	s_waitcnt lgkmcnt(0)
	; wave barrier
	s_and_saveexec_b64 s[0:1], vcc
	s_cbranch_execz .LBB120_13
; %bb.12:
	ds_read_b128 v[9:12], v13 offset:704
	ds_read_b128 v[14:17], v13
	s_waitcnt lgkmcnt(0)
	v_add_f64 v[9:10], v[9:10], v[14:15]
	v_add_f64 v[11:12], v[11:12], v[16:17]
	ds_write_b128 v13, v[9:12]
.LBB120_13:
	s_or_b64 exec, exec, s[0:1]
	v_cmp_gt_u32_e64 s[0:1], 22, v0
	s_waitcnt lgkmcnt(0)
	; wave barrier
	s_and_saveexec_b64 s[2:3], s[0:1]
	s_cbranch_execz .LBB120_15
; %bb.14:
	ds_read_b128 v[9:12], v13 offset:352
	ds_read_b128 v[14:17], v13
	s_waitcnt lgkmcnt(0)
	v_add_f64 v[9:10], v[9:10], v[14:15]
	v_add_f64 v[11:12], v[11:12], v[16:17]
	ds_write_b128 v13, v[9:12]
.LBB120_15:
	s_or_b64 exec, exec, s[2:3]
	s_waitcnt lgkmcnt(0)
	; wave barrier
	s_and_saveexec_b64 s[0:1], vcc
	s_cbranch_execz .LBB120_17
; %bb.16:
	ds_read_b128 v[9:12], v13 offset:176
	ds_read_b128 v[14:17], v13
	s_waitcnt lgkmcnt(0)
	v_add_f64 v[9:10], v[9:10], v[14:15]
	v_add_f64 v[11:12], v[11:12], v[16:17]
	ds_write_b128 v13, v[9:12]
.LBB120_17:
	s_or_b64 exec, exec, s[0:1]
	s_waitcnt lgkmcnt(0)
	; wave barrier
	s_and_b64 exec, exec, vcc
	s_cbranch_execz .LBB120_22
; %bb.18:
	ds_read_b128 v[9:12], v13
	v_cmp_eq_f64_e32 vcc, 0, v[1:2]
	v_cmp_eq_f64_e64 s[0:1], 0, v[3:4]
	s_waitcnt lgkmcnt(0)
	v_mul_f64 v[13:14], v[11:12], -v[7:8]
	v_mul_f64 v[11:12], v[5:6], v[11:12]
	s_and_b64 s[0:1], vcc, s[0:1]
	v_fma_f64 v[5:6], v[5:6], v[9:10], v[13:14]
	v_fma_f64 v[7:8], v[7:8], v[9:10], v[11:12]
	s_and_saveexec_b64 s[2:3], s[0:1]
	s_xor_b64 s[0:1], exec, s[2:3]
	s_cbranch_execz .LBB120_20
; %bb.19:
	v_mad_u64_u32 v[0:1], s[2:3], s6, 11, v[0:1]
	v_mov_b32_e32 v1, 0
	v_mov_b32_e32 v2, s9
	v_lshlrev_b64 v[0:1], 4, v[0:1]
	v_add_co_u32_e32 v0, vcc, s8, v0
	v_addc_co_u32_e32 v1, vcc, v2, v1, vcc
	global_store_dwordx4 v[0:1], v[5:8], off
                                        ; implicit-def: $vgpr0
                                        ; implicit-def: $vgpr1_vgpr2
                                        ; implicit-def: $vgpr5_vgpr6
.LBB120_20:
	s_andn2_saveexec_b64 s[0:1], s[0:1]
	s_cbranch_execz .LBB120_22
; %bb.21:
	v_mad_u64_u32 v[9:10], s[0:1], s6, 11, v[0:1]
	v_mov_b32_e32 v10, 0
	v_mov_b32_e32 v0, s9
	v_lshlrev_b64 v[9:10], 4, v[9:10]
	v_add_co_u32_e32 v13, vcc, s8, v9
	v_addc_co_u32_e32 v14, vcc, v0, v10, vcc
	global_load_dwordx4 v[9:12], v[13:14], off
	s_waitcnt vmcnt(0)
	v_fma_f64 v[5:6], v[1:2], v[9:10], v[5:6]
	v_fma_f64 v[7:8], v[3:4], v[9:10], v[7:8]
	v_fma_f64 v[3:4], -v[3:4], v[11:12], v[5:6]
	v_fma_f64 v[5:6], v[1:2], v[11:12], v[7:8]
	global_store_dwordx4 v[13:14], v[3:6], off
.LBB120_22:
	s_endpgm
	.section	.rodata,"a",@progbits
	.p2align	6, 0x0
	.amdhsa_kernel _ZN9rocsparseL22gebsrmvn_mxn_16_kernelILj55ELj11ELj1E21rocsparse_complex_numIdEEEvi20rocsparse_direction_NS_24const_host_device_scalarIT2_EEPKiS8_PKS5_iiSA_S6_PS5_21rocsparse_index_base_b
		.amdhsa_group_segment_fixed_size 880
		.amdhsa_private_segment_fixed_size 0
		.amdhsa_kernarg_size 96
		.amdhsa_user_sgpr_count 6
		.amdhsa_user_sgpr_private_segment_buffer 1
		.amdhsa_user_sgpr_dispatch_ptr 0
		.amdhsa_user_sgpr_queue_ptr 0
		.amdhsa_user_sgpr_kernarg_segment_ptr 1
		.amdhsa_user_sgpr_dispatch_id 0
		.amdhsa_user_sgpr_flat_scratch_init 0
		.amdhsa_user_sgpr_private_segment_size 0
		.amdhsa_uses_dynamic_stack 0
		.amdhsa_system_sgpr_private_segment_wavefront_offset 0
		.amdhsa_system_sgpr_workgroup_id_x 1
		.amdhsa_system_sgpr_workgroup_id_y 0
		.amdhsa_system_sgpr_workgroup_id_z 0
		.amdhsa_system_sgpr_workgroup_info 0
		.amdhsa_system_vgpr_workitem_id 0
		.amdhsa_next_free_vgpr 26
		.amdhsa_next_free_sgpr 16
		.amdhsa_reserve_vcc 1
		.amdhsa_reserve_flat_scratch 0
		.amdhsa_float_round_mode_32 0
		.amdhsa_float_round_mode_16_64 0
		.amdhsa_float_denorm_mode_32 3
		.amdhsa_float_denorm_mode_16_64 3
		.amdhsa_dx10_clamp 1
		.amdhsa_ieee_mode 1
		.amdhsa_fp16_overflow 0
		.amdhsa_exception_fp_ieee_invalid_op 0
		.amdhsa_exception_fp_denorm_src 0
		.amdhsa_exception_fp_ieee_div_zero 0
		.amdhsa_exception_fp_ieee_overflow 0
		.amdhsa_exception_fp_ieee_underflow 0
		.amdhsa_exception_fp_ieee_inexact 0
		.amdhsa_exception_int_div_zero 0
	.end_amdhsa_kernel
	.section	.text._ZN9rocsparseL22gebsrmvn_mxn_16_kernelILj55ELj11ELj1E21rocsparse_complex_numIdEEEvi20rocsparse_direction_NS_24const_host_device_scalarIT2_EEPKiS8_PKS5_iiSA_S6_PS5_21rocsparse_index_base_b,"axG",@progbits,_ZN9rocsparseL22gebsrmvn_mxn_16_kernelILj55ELj11ELj1E21rocsparse_complex_numIdEEEvi20rocsparse_direction_NS_24const_host_device_scalarIT2_EEPKiS8_PKS5_iiSA_S6_PS5_21rocsparse_index_base_b,comdat
.Lfunc_end120:
	.size	_ZN9rocsparseL22gebsrmvn_mxn_16_kernelILj55ELj11ELj1E21rocsparse_complex_numIdEEEvi20rocsparse_direction_NS_24const_host_device_scalarIT2_EEPKiS8_PKS5_iiSA_S6_PS5_21rocsparse_index_base_b, .Lfunc_end120-_ZN9rocsparseL22gebsrmvn_mxn_16_kernelILj55ELj11ELj1E21rocsparse_complex_numIdEEEvi20rocsparse_direction_NS_24const_host_device_scalarIT2_EEPKiS8_PKS5_iiSA_S6_PS5_21rocsparse_index_base_b
                                        ; -- End function
	.set _ZN9rocsparseL22gebsrmvn_mxn_16_kernelILj55ELj11ELj1E21rocsparse_complex_numIdEEEvi20rocsparse_direction_NS_24const_host_device_scalarIT2_EEPKiS8_PKS5_iiSA_S6_PS5_21rocsparse_index_base_b.num_vgpr, 26
	.set _ZN9rocsparseL22gebsrmvn_mxn_16_kernelILj55ELj11ELj1E21rocsparse_complex_numIdEEEvi20rocsparse_direction_NS_24const_host_device_scalarIT2_EEPKiS8_PKS5_iiSA_S6_PS5_21rocsparse_index_base_b.num_agpr, 0
	.set _ZN9rocsparseL22gebsrmvn_mxn_16_kernelILj55ELj11ELj1E21rocsparse_complex_numIdEEEvi20rocsparse_direction_NS_24const_host_device_scalarIT2_EEPKiS8_PKS5_iiSA_S6_PS5_21rocsparse_index_base_b.numbered_sgpr, 16
	.set _ZN9rocsparseL22gebsrmvn_mxn_16_kernelILj55ELj11ELj1E21rocsparse_complex_numIdEEEvi20rocsparse_direction_NS_24const_host_device_scalarIT2_EEPKiS8_PKS5_iiSA_S6_PS5_21rocsparse_index_base_b.num_named_barrier, 0
	.set _ZN9rocsparseL22gebsrmvn_mxn_16_kernelILj55ELj11ELj1E21rocsparse_complex_numIdEEEvi20rocsparse_direction_NS_24const_host_device_scalarIT2_EEPKiS8_PKS5_iiSA_S6_PS5_21rocsparse_index_base_b.private_seg_size, 0
	.set _ZN9rocsparseL22gebsrmvn_mxn_16_kernelILj55ELj11ELj1E21rocsparse_complex_numIdEEEvi20rocsparse_direction_NS_24const_host_device_scalarIT2_EEPKiS8_PKS5_iiSA_S6_PS5_21rocsparse_index_base_b.uses_vcc, 1
	.set _ZN9rocsparseL22gebsrmvn_mxn_16_kernelILj55ELj11ELj1E21rocsparse_complex_numIdEEEvi20rocsparse_direction_NS_24const_host_device_scalarIT2_EEPKiS8_PKS5_iiSA_S6_PS5_21rocsparse_index_base_b.uses_flat_scratch, 0
	.set _ZN9rocsparseL22gebsrmvn_mxn_16_kernelILj55ELj11ELj1E21rocsparse_complex_numIdEEEvi20rocsparse_direction_NS_24const_host_device_scalarIT2_EEPKiS8_PKS5_iiSA_S6_PS5_21rocsparse_index_base_b.has_dyn_sized_stack, 0
	.set _ZN9rocsparseL22gebsrmvn_mxn_16_kernelILj55ELj11ELj1E21rocsparse_complex_numIdEEEvi20rocsparse_direction_NS_24const_host_device_scalarIT2_EEPKiS8_PKS5_iiSA_S6_PS5_21rocsparse_index_base_b.has_recursion, 0
	.set _ZN9rocsparseL22gebsrmvn_mxn_16_kernelILj55ELj11ELj1E21rocsparse_complex_numIdEEEvi20rocsparse_direction_NS_24const_host_device_scalarIT2_EEPKiS8_PKS5_iiSA_S6_PS5_21rocsparse_index_base_b.has_indirect_call, 0
	.section	.AMDGPU.csdata,"",@progbits
; Kernel info:
; codeLenInByte = 932
; TotalNumSgprs: 20
; NumVgprs: 26
; ScratchSize: 0
; MemoryBound: 0
; FloatMode: 240
; IeeeMode: 1
; LDSByteSize: 880 bytes/workgroup (compile time only)
; SGPRBlocks: 2
; VGPRBlocks: 6
; NumSGPRsForWavesPerEU: 20
; NumVGPRsForWavesPerEU: 26
; Occupancy: 9
; WaveLimiterHint : 1
; COMPUTE_PGM_RSRC2:SCRATCH_EN: 0
; COMPUTE_PGM_RSRC2:USER_SGPR: 6
; COMPUTE_PGM_RSRC2:TRAP_HANDLER: 0
; COMPUTE_PGM_RSRC2:TGID_X_EN: 1
; COMPUTE_PGM_RSRC2:TGID_Y_EN: 0
; COMPUTE_PGM_RSRC2:TGID_Z_EN: 0
; COMPUTE_PGM_RSRC2:TIDIG_COMP_CNT: 0
	.section	.text._ZN9rocsparseL22gebsrmvn_mxn_16_kernelILj44ELj11ELj2E21rocsparse_complex_numIdEEEvi20rocsparse_direction_NS_24const_host_device_scalarIT2_EEPKiS8_PKS5_iiSA_S6_PS5_21rocsparse_index_base_b,"axG",@progbits,_ZN9rocsparseL22gebsrmvn_mxn_16_kernelILj44ELj11ELj2E21rocsparse_complex_numIdEEEvi20rocsparse_direction_NS_24const_host_device_scalarIT2_EEPKiS8_PKS5_iiSA_S6_PS5_21rocsparse_index_base_b,comdat
	.globl	_ZN9rocsparseL22gebsrmvn_mxn_16_kernelILj44ELj11ELj2E21rocsparse_complex_numIdEEEvi20rocsparse_direction_NS_24const_host_device_scalarIT2_EEPKiS8_PKS5_iiSA_S6_PS5_21rocsparse_index_base_b ; -- Begin function _ZN9rocsparseL22gebsrmvn_mxn_16_kernelILj44ELj11ELj2E21rocsparse_complex_numIdEEEvi20rocsparse_direction_NS_24const_host_device_scalarIT2_EEPKiS8_PKS5_iiSA_S6_PS5_21rocsparse_index_base_b
	.p2align	8
	.type	_ZN9rocsparseL22gebsrmvn_mxn_16_kernelILj44ELj11ELj2E21rocsparse_complex_numIdEEEvi20rocsparse_direction_NS_24const_host_device_scalarIT2_EEPKiS8_PKS5_iiSA_S6_PS5_21rocsparse_index_base_b,@function
_ZN9rocsparseL22gebsrmvn_mxn_16_kernelILj44ELj11ELj2E21rocsparse_complex_numIdEEEvi20rocsparse_direction_NS_24const_host_device_scalarIT2_EEPKiS8_PKS5_iiSA_S6_PS5_21rocsparse_index_base_b: ; @_ZN9rocsparseL22gebsrmvn_mxn_16_kernelILj44ELj11ELj2E21rocsparse_complex_numIdEEEvi20rocsparse_direction_NS_24const_host_device_scalarIT2_EEPKiS8_PKS5_iiSA_S6_PS5_21rocsparse_index_base_b
; %bb.0:
	s_load_dwordx2 s[0:1], s[4:5], 0x8
	s_load_dwordx2 s[2:3], s[4:5], 0x40
	;; [unrolled: 1-line block ×3, first 2 shown]
	s_add_u32 s7, s4, 8
	s_addc_u32 s8, s5, 0
	s_add_u32 s9, s4, 64
	s_addc_u32 s12, s5, 0
	s_waitcnt lgkmcnt(0)
	s_bitcmp1_b32 s11, 0
	s_cselect_b32 s1, s8, s1
	s_cselect_b32 s0, s7, s0
	v_mov_b32_e32 v1, s0
	v_mov_b32_e32 v2, s1
	flat_load_dwordx4 v[5:8], v[1:2]
	s_cselect_b32 s0, s12, s3
	s_cselect_b32 s1, s9, s2
	v_mov_b32_e32 v1, s1
	v_mov_b32_e32 v2, s0
	flat_load_dwordx4 v[1:4], v[1:2]
	s_waitcnt vmcnt(0) lgkmcnt(0)
	v_cmp_eq_f64_e32 vcc, 0, v[5:6]
	v_cmp_eq_f64_e64 s[0:1], 0, v[7:8]
	s_and_b64 s[8:9], vcc, s[0:1]
	s_mov_b64 s[0:1], -1
	s_and_saveexec_b64 s[2:3], s[8:9]
	s_cbranch_execz .LBB121_2
; %bb.1:
	v_cmp_neq_f64_e32 vcc, 1.0, v[1:2]
	v_cmp_neq_f64_e64 s[0:1], 0, v[3:4]
	s_or_b64 s[0:1], vcc, s[0:1]
	s_orn2_b64 s[0:1], s[0:1], exec
.LBB121_2:
	s_or_b64 exec, exec, s[2:3]
	s_and_saveexec_b64 s[2:3], s[0:1]
	s_cbranch_execz .LBB121_29
; %bb.3:
	s_load_dword s2, s[4:5], 0x4
	s_load_dwordx2 s[0:1], s[4:5], 0x18
	v_and_b32_e32 v17, 1, v0
	v_mov_b32_e32 v18, v17
	s_waitcnt lgkmcnt(0)
	s_cmp_lg_u32 s2, 1
	s_cselect_b64 s[12:13], -1, 0
	s_and_b64 vcc, exec, s[12:13]
	s_cbranch_vccnz .LBB121_5
; %bb.4:
	v_mul_u32_u24_e32 v9, 0x1746, v0
	v_bfe_u32 v18, v9, 16, 1
.LBB121_5:
	s_ashr_i32 s7, s6, 31
	s_lshl_b64 s[2:3], s[6:7], 2
	s_add_u32 s0, s0, s2
	s_addc_u32 s1, s1, s3
	s_load_dwordx2 s[16:17], s[0:1], 0x0
	s_load_dwordx2 s[8:9], s[4:5], 0x50
	v_mov_b32_e32 v11, 0
	v_mov_b32_e32 v9, 0
	;; [unrolled: 1-line block ×3, first 2 shown]
	s_waitcnt lgkmcnt(0)
	s_cmp_ge_i32 s16, s17
	v_mov_b32_e32 v10, 0
	s_cbranch_scc1 .LBB121_10
; %bb.6:
	s_load_dwordx4 s[0:3], s[4:5], 0x20
	s_load_dwordx2 s[14:15], s[4:5], 0x38
	v_mad_u64_u32 v[9:10], s[4:5], s16, 22, v[0:1]
	s_mul_i32 s4, s10, 22
	v_mov_b32_e32 v11, 0
	v_subrev_u32_e32 v13, s4, v9
	v_mov_b32_e32 v12, 0
	v_mov_b32_e32 v9, v11
	s_sub_i32 s7, s17, s10
	s_sub_i32 s11, s16, s10
	v_mul_u32_u24_e32 v19, 0xba3, v0
	v_mov_b32_e32 v14, 0
	v_mov_b32_e32 v10, v12
	s_branch .LBB121_8
.LBB121_7:                              ;   in Loop: Header=BB121_8 Depth=1
	s_or_b64 exec, exec, s[4:5]
	s_add_i32 s11, s11, 2
	s_cmp_ge_i32 s11, s7
	v_add_u32_e32 v13, 44, v13
	s_cbranch_scc1 .LBB121_10
.LBB121_8:                              ; =>This Inner Loop Header: Depth=1
	v_add_u32_sdwa v15, v19, s11 dst_sel:DWORD dst_unused:UNUSED_PAD src0_sel:WORD_1 src1_sel:DWORD
	v_cmp_gt_i32_e32 vcc, s7, v15
	s_and_saveexec_b64 s[4:5], vcc
	s_cbranch_execz .LBB121_7
; %bb.9:                                ;   in Loop: Header=BB121_8 Depth=1
	v_ashrrev_i32_e32 v16, 31, v15
	v_lshlrev_b64 v[15:16], 2, v[15:16]
	s_waitcnt lgkmcnt(0)
	v_mov_b32_e32 v20, s1
	v_add_co_u32_e32 v15, vcc, s0, v15
	v_addc_co_u32_e32 v16, vcc, v20, v16, vcc
	global_load_dword v24, v[15:16], off
	v_lshlrev_b64 v[15:16], 4, v[13:14]
	v_mov_b32_e32 v20, s3
	v_add_co_u32_e32 v15, vcc, s2, v15
	v_addc_co_u32_e32 v16, vcc, v20, v16, vcc
	global_load_dwordx4 v[20:23], v[15:16], off
	v_mov_b32_e32 v25, s15
	s_waitcnt vmcnt(1)
	v_subrev_u32_e32 v15, s10, v24
	v_lshl_or_b32 v15, v15, 1, v18
	v_ashrrev_i32_e32 v16, 31, v15
	v_lshlrev_b64 v[15:16], 4, v[15:16]
	v_add_co_u32_e32 v15, vcc, s14, v15
	v_addc_co_u32_e32 v16, vcc, v25, v16, vcc
	global_load_dwordx4 v[24:27], v[15:16], off
	s_waitcnt vmcnt(0)
	v_fma_f64 v[9:10], v[20:21], v[24:25], v[9:10]
	v_fma_f64 v[11:12], v[22:23], v[24:25], v[11:12]
	v_fma_f64 v[9:10], -v[22:23], v[26:27], v[9:10]
	v_fma_f64 v[11:12], v[20:21], v[26:27], v[11:12]
	s_branch .LBB121_7
.LBB121_10:
	v_lshlrev_b32_e32 v18, 4, v0
	v_cmp_gt_u32_e32 vcc, 22, v0
	ds_write_b128 v18, v[9:12]
	s_waitcnt lgkmcnt(0)
	; wave barrier
	s_and_saveexec_b64 s[0:1], vcc
	s_cbranch_execz .LBB121_12
; %bb.11:
	ds_read_b128 v[13:16], v18 offset:352
	ds_read_b128 v[19:22], v18
	s_waitcnt lgkmcnt(0)
	v_add_f64 v[13:14], v[13:14], v[19:20]
	v_add_f64 v[15:16], v[15:16], v[21:22]
	ds_write_b128 v18, v[13:16]
.LBB121_12:
	s_or_b64 exec, exec, s[0:1]
	s_and_b64 vcc, exec, s[12:13]
	s_waitcnt lgkmcnt(0)
	; wave barrier
	s_cbranch_vccz .LBB121_18
; %bb.13:
	v_cmp_eq_u32_e32 vcc, 0, v17
	s_and_saveexec_b64 s[0:1], vcc
	s_cbranch_execz .LBB121_15
; %bb.14:
	ds_read_b128 v[13:16], v18
	ds_read_b128 v[19:22], v18 offset:16
	s_waitcnt lgkmcnt(0)
	v_add_f64 v[13:14], v[19:20], v[13:14]
	v_add_f64 v[15:16], v[21:22], v[15:16]
	ds_write_b128 v18, v[13:16]
.LBB121_15:
	s_or_b64 exec, exec, s[0:1]
	v_mov_b32_e32 v16, v12
	v_mov_b32_e32 v14, v10
	v_cmp_gt_u32_e32 vcc, 11, v0
	v_mov_b32_e32 v15, v11
	v_mov_b32_e32 v13, v9
	s_waitcnt lgkmcnt(0)
	; wave barrier
	s_and_saveexec_b64 s[0:1], vcc
; %bb.16:
	v_lshl_add_u32 v13, v0, 4, v18
	ds_read_b128 v[13:16], v13
; %bb.17:
	s_or_b64 exec, exec, s[0:1]
	s_branch .LBB121_24
.LBB121_18:
                                        ; implicit-def: $vgpr15_vgpr16
	s_cbranch_execz .LBB121_24
; %bb.19:
	v_cmp_lt_u32_e32 vcc, 10, v0
	s_and_saveexec_b64 s[0:1], vcc
	s_xor_b64 s[0:1], exec, s[0:1]
	s_cbranch_execz .LBB121_21
; %bb.20:
	s_waitcnt lgkmcnt(0)
                                        ; implicit-def: $vgpr18
.LBB121_21:
	s_andn2_saveexec_b64 s[0:1], s[0:1]
	s_cbranch_execz .LBB121_23
; %bb.22:
	ds_read_b128 v[9:12], v18 offset:176
	s_waitcnt lgkmcnt(1)
	ds_read_b128 v[13:16], v18
	s_waitcnt lgkmcnt(0)
	v_add_f64 v[9:10], v[9:10], v[13:14]
	v_add_f64 v[11:12], v[11:12], v[15:16]
	ds_write_b128 v18, v[9:12]
	s_waitcnt lgkmcnt(0)
	ds_read_b128 v[9:12], v18
.LBB121_23:
	s_or_b64 exec, exec, s[0:1]
	s_waitcnt lgkmcnt(0)
	v_mov_b32_e32 v14, v10
	v_mov_b32_e32 v16, v12
	;; [unrolled: 1-line block ×4, first 2 shown]
.LBB121_24:
	v_cmp_gt_u32_e32 vcc, 11, v0
	s_and_b64 exec, exec, vcc
	s_cbranch_execz .LBB121_29
; %bb.25:
	s_waitcnt lgkmcnt(0)
	v_mul_f64 v[9:10], v[15:16], -v[7:8]
	v_mul_f64 v[11:12], v[5:6], v[15:16]
	v_cmp_eq_f64_e32 vcc, 0, v[1:2]
	v_cmp_eq_f64_e64 s[0:1], 0, v[3:4]
	v_fma_f64 v[5:6], v[5:6], v[13:14], v[9:10]
	v_fma_f64 v[7:8], v[7:8], v[13:14], v[11:12]
	s_and_b64 s[0:1], vcc, s[0:1]
	s_and_saveexec_b64 s[2:3], s[0:1]
	s_xor_b64 s[0:1], exec, s[2:3]
	s_cbranch_execz .LBB121_27
; %bb.26:
	v_mad_u64_u32 v[0:1], s[2:3], s6, 11, v[0:1]
	v_mov_b32_e32 v1, 0
	v_mov_b32_e32 v2, s9
	v_lshlrev_b64 v[0:1], 4, v[0:1]
	v_add_co_u32_e32 v0, vcc, s8, v0
	v_addc_co_u32_e32 v1, vcc, v2, v1, vcc
	global_store_dwordx4 v[0:1], v[5:8], off
                                        ; implicit-def: $vgpr0
                                        ; implicit-def: $vgpr1_vgpr2
                                        ; implicit-def: $vgpr5_vgpr6
.LBB121_27:
	s_andn2_saveexec_b64 s[0:1], s[0:1]
	s_cbranch_execz .LBB121_29
; %bb.28:
	v_mad_u64_u32 v[9:10], s[0:1], s6, 11, v[0:1]
	v_mov_b32_e32 v10, 0
	v_mov_b32_e32 v0, s9
	v_lshlrev_b64 v[9:10], 4, v[9:10]
	v_add_co_u32_e32 v13, vcc, s8, v9
	v_addc_co_u32_e32 v14, vcc, v0, v10, vcc
	global_load_dwordx4 v[9:12], v[13:14], off
	s_waitcnt vmcnt(0)
	v_fma_f64 v[5:6], v[1:2], v[9:10], v[5:6]
	v_fma_f64 v[7:8], v[3:4], v[9:10], v[7:8]
	v_fma_f64 v[3:4], -v[3:4], v[11:12], v[5:6]
	v_fma_f64 v[5:6], v[1:2], v[11:12], v[7:8]
	global_store_dwordx4 v[13:14], v[3:6], off
.LBB121_29:
	s_endpgm
	.section	.rodata,"a",@progbits
	.p2align	6, 0x0
	.amdhsa_kernel _ZN9rocsparseL22gebsrmvn_mxn_16_kernelILj44ELj11ELj2E21rocsparse_complex_numIdEEEvi20rocsparse_direction_NS_24const_host_device_scalarIT2_EEPKiS8_PKS5_iiSA_S6_PS5_21rocsparse_index_base_b
		.amdhsa_group_segment_fixed_size 704
		.amdhsa_private_segment_fixed_size 0
		.amdhsa_kernarg_size 96
		.amdhsa_user_sgpr_count 6
		.amdhsa_user_sgpr_private_segment_buffer 1
		.amdhsa_user_sgpr_dispatch_ptr 0
		.amdhsa_user_sgpr_queue_ptr 0
		.amdhsa_user_sgpr_kernarg_segment_ptr 1
		.amdhsa_user_sgpr_dispatch_id 0
		.amdhsa_user_sgpr_flat_scratch_init 0
		.amdhsa_user_sgpr_private_segment_size 0
		.amdhsa_uses_dynamic_stack 0
		.amdhsa_system_sgpr_private_segment_wavefront_offset 0
		.amdhsa_system_sgpr_workgroup_id_x 1
		.amdhsa_system_sgpr_workgroup_id_y 0
		.amdhsa_system_sgpr_workgroup_id_z 0
		.amdhsa_system_sgpr_workgroup_info 0
		.amdhsa_system_vgpr_workitem_id 0
		.amdhsa_next_free_vgpr 28
		.amdhsa_next_free_sgpr 18
		.amdhsa_reserve_vcc 1
		.amdhsa_reserve_flat_scratch 0
		.amdhsa_float_round_mode_32 0
		.amdhsa_float_round_mode_16_64 0
		.amdhsa_float_denorm_mode_32 3
		.amdhsa_float_denorm_mode_16_64 3
		.amdhsa_dx10_clamp 1
		.amdhsa_ieee_mode 1
		.amdhsa_fp16_overflow 0
		.amdhsa_exception_fp_ieee_invalid_op 0
		.amdhsa_exception_fp_denorm_src 0
		.amdhsa_exception_fp_ieee_div_zero 0
		.amdhsa_exception_fp_ieee_overflow 0
		.amdhsa_exception_fp_ieee_underflow 0
		.amdhsa_exception_fp_ieee_inexact 0
		.amdhsa_exception_int_div_zero 0
	.end_amdhsa_kernel
	.section	.text._ZN9rocsparseL22gebsrmvn_mxn_16_kernelILj44ELj11ELj2E21rocsparse_complex_numIdEEEvi20rocsparse_direction_NS_24const_host_device_scalarIT2_EEPKiS8_PKS5_iiSA_S6_PS5_21rocsparse_index_base_b,"axG",@progbits,_ZN9rocsparseL22gebsrmvn_mxn_16_kernelILj44ELj11ELj2E21rocsparse_complex_numIdEEEvi20rocsparse_direction_NS_24const_host_device_scalarIT2_EEPKiS8_PKS5_iiSA_S6_PS5_21rocsparse_index_base_b,comdat
.Lfunc_end121:
	.size	_ZN9rocsparseL22gebsrmvn_mxn_16_kernelILj44ELj11ELj2E21rocsparse_complex_numIdEEEvi20rocsparse_direction_NS_24const_host_device_scalarIT2_EEPKiS8_PKS5_iiSA_S6_PS5_21rocsparse_index_base_b, .Lfunc_end121-_ZN9rocsparseL22gebsrmvn_mxn_16_kernelILj44ELj11ELj2E21rocsparse_complex_numIdEEEvi20rocsparse_direction_NS_24const_host_device_scalarIT2_EEPKiS8_PKS5_iiSA_S6_PS5_21rocsparse_index_base_b
                                        ; -- End function
	.set _ZN9rocsparseL22gebsrmvn_mxn_16_kernelILj44ELj11ELj2E21rocsparse_complex_numIdEEEvi20rocsparse_direction_NS_24const_host_device_scalarIT2_EEPKiS8_PKS5_iiSA_S6_PS5_21rocsparse_index_base_b.num_vgpr, 28
	.set _ZN9rocsparseL22gebsrmvn_mxn_16_kernelILj44ELj11ELj2E21rocsparse_complex_numIdEEEvi20rocsparse_direction_NS_24const_host_device_scalarIT2_EEPKiS8_PKS5_iiSA_S6_PS5_21rocsparse_index_base_b.num_agpr, 0
	.set _ZN9rocsparseL22gebsrmvn_mxn_16_kernelILj44ELj11ELj2E21rocsparse_complex_numIdEEEvi20rocsparse_direction_NS_24const_host_device_scalarIT2_EEPKiS8_PKS5_iiSA_S6_PS5_21rocsparse_index_base_b.numbered_sgpr, 18
	.set _ZN9rocsparseL22gebsrmvn_mxn_16_kernelILj44ELj11ELj2E21rocsparse_complex_numIdEEEvi20rocsparse_direction_NS_24const_host_device_scalarIT2_EEPKiS8_PKS5_iiSA_S6_PS5_21rocsparse_index_base_b.num_named_barrier, 0
	.set _ZN9rocsparseL22gebsrmvn_mxn_16_kernelILj44ELj11ELj2E21rocsparse_complex_numIdEEEvi20rocsparse_direction_NS_24const_host_device_scalarIT2_EEPKiS8_PKS5_iiSA_S6_PS5_21rocsparse_index_base_b.private_seg_size, 0
	.set _ZN9rocsparseL22gebsrmvn_mxn_16_kernelILj44ELj11ELj2E21rocsparse_complex_numIdEEEvi20rocsparse_direction_NS_24const_host_device_scalarIT2_EEPKiS8_PKS5_iiSA_S6_PS5_21rocsparse_index_base_b.uses_vcc, 1
	.set _ZN9rocsparseL22gebsrmvn_mxn_16_kernelILj44ELj11ELj2E21rocsparse_complex_numIdEEEvi20rocsparse_direction_NS_24const_host_device_scalarIT2_EEPKiS8_PKS5_iiSA_S6_PS5_21rocsparse_index_base_b.uses_flat_scratch, 0
	.set _ZN9rocsparseL22gebsrmvn_mxn_16_kernelILj44ELj11ELj2E21rocsparse_complex_numIdEEEvi20rocsparse_direction_NS_24const_host_device_scalarIT2_EEPKiS8_PKS5_iiSA_S6_PS5_21rocsparse_index_base_b.has_dyn_sized_stack, 0
	.set _ZN9rocsparseL22gebsrmvn_mxn_16_kernelILj44ELj11ELj2E21rocsparse_complex_numIdEEEvi20rocsparse_direction_NS_24const_host_device_scalarIT2_EEPKiS8_PKS5_iiSA_S6_PS5_21rocsparse_index_base_b.has_recursion, 0
	.set _ZN9rocsparseL22gebsrmvn_mxn_16_kernelILj44ELj11ELj2E21rocsparse_complex_numIdEEEvi20rocsparse_direction_NS_24const_host_device_scalarIT2_EEPKiS8_PKS5_iiSA_S6_PS5_21rocsparse_index_base_b.has_indirect_call, 0
	.section	.AMDGPU.csdata,"",@progbits
; Kernel info:
; codeLenInByte = 1072
; TotalNumSgprs: 22
; NumVgprs: 28
; ScratchSize: 0
; MemoryBound: 0
; FloatMode: 240
; IeeeMode: 1
; LDSByteSize: 704 bytes/workgroup (compile time only)
; SGPRBlocks: 2
; VGPRBlocks: 6
; NumSGPRsForWavesPerEU: 22
; NumVGPRsForWavesPerEU: 28
; Occupancy: 9
; WaveLimiterHint : 1
; COMPUTE_PGM_RSRC2:SCRATCH_EN: 0
; COMPUTE_PGM_RSRC2:USER_SGPR: 6
; COMPUTE_PGM_RSRC2:TRAP_HANDLER: 0
; COMPUTE_PGM_RSRC2:TGID_X_EN: 1
; COMPUTE_PGM_RSRC2:TGID_Y_EN: 0
; COMPUTE_PGM_RSRC2:TGID_Z_EN: 0
; COMPUTE_PGM_RSRC2:TIDIG_COMP_CNT: 0
	.section	.text._ZN9rocsparseL22gebsrmvn_mxn_16_kernelILj33ELj11ELj3E21rocsparse_complex_numIdEEEvi20rocsparse_direction_NS_24const_host_device_scalarIT2_EEPKiS8_PKS5_iiSA_S6_PS5_21rocsparse_index_base_b,"axG",@progbits,_ZN9rocsparseL22gebsrmvn_mxn_16_kernelILj33ELj11ELj3E21rocsparse_complex_numIdEEEvi20rocsparse_direction_NS_24const_host_device_scalarIT2_EEPKiS8_PKS5_iiSA_S6_PS5_21rocsparse_index_base_b,comdat
	.globl	_ZN9rocsparseL22gebsrmvn_mxn_16_kernelILj33ELj11ELj3E21rocsparse_complex_numIdEEEvi20rocsparse_direction_NS_24const_host_device_scalarIT2_EEPKiS8_PKS5_iiSA_S6_PS5_21rocsparse_index_base_b ; -- Begin function _ZN9rocsparseL22gebsrmvn_mxn_16_kernelILj33ELj11ELj3E21rocsparse_complex_numIdEEEvi20rocsparse_direction_NS_24const_host_device_scalarIT2_EEPKiS8_PKS5_iiSA_S6_PS5_21rocsparse_index_base_b
	.p2align	8
	.type	_ZN9rocsparseL22gebsrmvn_mxn_16_kernelILj33ELj11ELj3E21rocsparse_complex_numIdEEEvi20rocsparse_direction_NS_24const_host_device_scalarIT2_EEPKiS8_PKS5_iiSA_S6_PS5_21rocsparse_index_base_b,@function
_ZN9rocsparseL22gebsrmvn_mxn_16_kernelILj33ELj11ELj3E21rocsparse_complex_numIdEEEvi20rocsparse_direction_NS_24const_host_device_scalarIT2_EEPKiS8_PKS5_iiSA_S6_PS5_21rocsparse_index_base_b: ; @_ZN9rocsparseL22gebsrmvn_mxn_16_kernelILj33ELj11ELj3E21rocsparse_complex_numIdEEEvi20rocsparse_direction_NS_24const_host_device_scalarIT2_EEPKiS8_PKS5_iiSA_S6_PS5_21rocsparse_index_base_b
; %bb.0:
	s_load_dwordx2 s[0:1], s[4:5], 0x8
	s_load_dwordx2 s[2:3], s[4:5], 0x40
	;; [unrolled: 1-line block ×3, first 2 shown]
	s_add_u32 s7, s4, 8
	s_addc_u32 s8, s5, 0
	s_add_u32 s9, s4, 64
	s_addc_u32 s12, s5, 0
	s_waitcnt lgkmcnt(0)
	s_bitcmp1_b32 s11, 0
	s_cselect_b32 s1, s8, s1
	s_cselect_b32 s0, s7, s0
	v_mov_b32_e32 v1, s0
	v_mov_b32_e32 v2, s1
	flat_load_dwordx4 v[5:8], v[1:2]
	s_cselect_b32 s0, s12, s3
	s_cselect_b32 s1, s9, s2
	v_mov_b32_e32 v1, s1
	v_mov_b32_e32 v2, s0
	flat_load_dwordx4 v[1:4], v[1:2]
	s_waitcnt vmcnt(0) lgkmcnt(0)
	v_cmp_eq_f64_e32 vcc, 0, v[5:6]
	v_cmp_eq_f64_e64 s[0:1], 0, v[7:8]
	s_and_b64 s[8:9], vcc, s[0:1]
	s_mov_b64 s[0:1], -1
	s_and_saveexec_b64 s[2:3], s[8:9]
	s_cbranch_execz .LBB122_2
; %bb.1:
	v_cmp_neq_f64_e32 vcc, 1.0, v[1:2]
	v_cmp_neq_f64_e64 s[0:1], 0, v[3:4]
	s_or_b64 s[0:1], vcc, s[0:1]
	s_orn2_b64 s[0:1], s[0:1], exec
.LBB122_2:
	s_or_b64 exec, exec, s[2:3]
	s_and_saveexec_b64 s[2:3], s[0:1]
	s_cbranch_execz .LBB122_31
; %bb.3:
	s_load_dwordx2 s[0:1], s[4:5], 0x18
	s_load_dword s2, s[4:5], 0x4
	v_mul_u32_u24_e32 v10, 0x5556, v0
	v_mov_b32_e32 v9, 3
	v_mul_lo_u16_sdwa v10, v10, v9 dst_sel:DWORD dst_unused:UNUSED_PAD src0_sel:WORD_1 src1_sel:DWORD
	v_sub_u16_e32 v18, v0, v10
	s_waitcnt lgkmcnt(0)
	s_cmp_lg_u32 s2, 1
	s_cselect_b64 s[12:13], -1, 0
	s_and_b64 vcc, exec, s[12:13]
	v_mov_b32_e32 v13, v18
	s_cbranch_vccnz .LBB122_5
; %bb.4:
	s_movk_i32 s2, 0x1746
	v_mul_u32_u24_sdwa v10, v0, s2 dst_sel:DWORD dst_unused:UNUSED_PAD src0_sel:WORD_0 src1_sel:DWORD
	s_movk_i32 s2, 0x56
	v_mul_lo_u16_sdwa v11, v10, s2 dst_sel:DWORD dst_unused:UNUSED_PAD src0_sel:WORD_1 src1_sel:DWORD
	v_mul_lo_u16_sdwa v9, v11, v9 dst_sel:DWORD dst_unused:UNUSED_PAD src0_sel:BYTE_1 src1_sel:DWORD
	v_sub_u16_sdwa v9, v10, v9 dst_sel:DWORD dst_unused:UNUSED_PAD src0_sel:WORD_1 src1_sel:DWORD
	v_and_b32_e32 v13, 0xff, v9
.LBB122_5:
	s_ashr_i32 s7, s6, 31
	s_lshl_b64 s[2:3], s[6:7], 2
	s_add_u32 s0, s0, s2
	s_addc_u32 s1, s1, s3
	s_load_dwordx2 s[16:17], s[0:1], 0x0
	s_load_dwordx2 s[8:9], s[4:5], 0x50
	v_mov_b32_e32 v11, 0
	v_mov_b32_e32 v9, 0
	;; [unrolled: 1-line block ×3, first 2 shown]
	s_waitcnt lgkmcnt(0)
	s_cmp_ge_i32 s16, s17
	v_mov_b32_e32 v10, 0
	s_cbranch_scc1 .LBB122_10
; %bb.6:
	s_load_dwordx4 s[0:3], s[4:5], 0x20
	s_load_dwordx2 s[14:15], s[4:5], 0x38
	v_mad_u64_u32 v[9:10], s[4:5], s16, 33, v[0:1]
	s_movk_i32 s4, 0x7c2
	v_mul_u32_u24_sdwa v19, v0, s4 dst_sel:DWORD dst_unused:UNUSED_PAD src0_sel:WORD_0 src1_sel:DWORD
	s_mul_i32 s4, s10, 33
	v_mov_b32_e32 v11, 0
	v_subrev_u32_e32 v14, s4, v9
	v_mov_b32_e32 v12, 0
	v_mov_b32_e32 v9, v11
	s_sub_i32 s7, s17, s10
	s_sub_i32 s11, s16, s10
	v_mov_b32_e32 v15, 0
	v_mov_b32_e32 v10, v12
	s_branch .LBB122_8
.LBB122_7:                              ;   in Loop: Header=BB122_8 Depth=1
	s_or_b64 exec, exec, s[4:5]
	s_add_i32 s11, s11, 1
	s_cmp_ge_i32 s11, s7
	v_add_u32_e32 v14, 33, v14
	s_cbranch_scc1 .LBB122_10
.LBB122_8:                              ; =>This Inner Loop Header: Depth=1
	v_add_u32_sdwa v16, v19, s11 dst_sel:DWORD dst_unused:UNUSED_PAD src0_sel:WORD_1 src1_sel:DWORD
	v_cmp_gt_i32_e32 vcc, s7, v16
	s_and_saveexec_b64 s[4:5], vcc
	s_cbranch_execz .LBB122_7
; %bb.9:                                ;   in Loop: Header=BB122_8 Depth=1
	v_ashrrev_i32_e32 v17, 31, v16
	v_lshlrev_b64 v[16:17], 2, v[16:17]
	s_waitcnt lgkmcnt(0)
	v_mov_b32_e32 v20, s1
	v_add_co_u32_e32 v16, vcc, s0, v16
	v_addc_co_u32_e32 v17, vcc, v20, v17, vcc
	global_load_dword v20, v[16:17], off
	v_lshlrev_b64 v[16:17], 4, v[14:15]
	v_mov_b32_e32 v21, s3
	v_add_co_u32_e32 v16, vcc, s2, v16
	v_addc_co_u32_e32 v17, vcc, v21, v17, vcc
	v_mov_b32_e32 v26, s15
	s_waitcnt vmcnt(0)
	v_subrev_u32_e32 v20, s10, v20
	v_mad_u64_u32 v[24:25], s[16:17], v20, 3, v[13:14]
	global_load_dwordx4 v[20:23], v[16:17], off
	v_ashrrev_i32_e32 v25, 31, v24
	v_lshlrev_b64 v[16:17], 4, v[24:25]
	v_add_co_u32_e32 v16, vcc, s14, v16
	v_addc_co_u32_e32 v17, vcc, v26, v17, vcc
	global_load_dwordx4 v[24:27], v[16:17], off
	s_waitcnt vmcnt(0)
	v_fma_f64 v[9:10], v[20:21], v[24:25], v[9:10]
	v_fma_f64 v[11:12], v[22:23], v[24:25], v[11:12]
	v_fma_f64 v[9:10], -v[22:23], v[26:27], v[9:10]
	v_fma_f64 v[11:12], v[20:21], v[26:27], v[11:12]
	s_branch .LBB122_7
.LBB122_10:
	v_lshlrev_b32_e32 v17, 4, v0
	s_and_b64 vcc, exec, s[12:13]
	ds_write_b128 v17, v[9:12]
	s_waitcnt lgkmcnt(0)
	; wave barrier
	s_cbranch_vccz .LBB122_18
; %bb.11:
	v_cmp_eq_u16_e32 vcc, 0, v18
	s_and_saveexec_b64 s[0:1], vcc
	s_cbranch_execz .LBB122_13
; %bb.12:
	ds_read_b128 v[13:16], v17
	ds_read_b128 v[18:21], v17 offset:32
	s_waitcnt lgkmcnt(0)
	v_add_f64 v[13:14], v[18:19], v[13:14]
	v_add_f64 v[15:16], v[20:21], v[15:16]
	ds_write_b128 v17, v[13:16]
.LBB122_13:
	s_or_b64 exec, exec, s[0:1]
	s_waitcnt lgkmcnt(0)
	; wave barrier
	s_and_saveexec_b64 s[0:1], vcc
	s_cbranch_execz .LBB122_15
; %bb.14:
	ds_read_b128 v[13:16], v17
	ds_read_b128 v[18:21], v17 offset:16
	s_waitcnt lgkmcnt(0)
	v_add_f64 v[13:14], v[18:19], v[13:14]
	v_add_f64 v[15:16], v[20:21], v[15:16]
	ds_write_b128 v17, v[13:16]
.LBB122_15:
	s_or_b64 exec, exec, s[0:1]
	v_mov_b32_e32 v16, v12
	v_mov_b32_e32 v14, v10
	v_cmp_gt_u32_e32 vcc, 11, v0
	v_mov_b32_e32 v15, v11
	v_mov_b32_e32 v13, v9
	s_waitcnt lgkmcnt(0)
	; wave barrier
	s_and_saveexec_b64 s[0:1], vcc
; %bb.16:
	v_lshl_add_u32 v13, v0, 5, v17
	ds_read_b128 v[13:16], v13
; %bb.17:
	s_or_b64 exec, exec, s[0:1]
	v_cmp_gt_u32_e64 s[0:1], 11, v0
	s_branch .LBB122_26
.LBB122_18:
                                        ; implicit-def: $vgpr15_vgpr16
	v_cmp_gt_u32_e64 s[0:1], 11, v0
	s_cbranch_execz .LBB122_26
; %bb.19:
	v_cmp_lt_u32_e32 vcc, 10, v0
	s_and_saveexec_b64 s[2:3], s[0:1]
	s_cbranch_execz .LBB122_21
; %bb.20:
	s_waitcnt lgkmcnt(0)
	ds_read_b128 v[13:16], v17 offset:352
	ds_read_b128 v[18:21], v17
	s_waitcnt lgkmcnt(0)
	v_add_f64 v[13:14], v[13:14], v[18:19]
	v_add_f64 v[15:16], v[15:16], v[20:21]
	ds_write_b128 v17, v[13:16]
.LBB122_21:
	s_or_b64 exec, exec, s[2:3]
	s_waitcnt lgkmcnt(0)
	; wave barrier
	s_and_saveexec_b64 s[0:1], vcc
	s_xor_b64 s[0:1], exec, s[0:1]
; %bb.22:
                                        ; implicit-def: $vgpr17
; %bb.23:
	s_andn2_saveexec_b64 s[0:1], s[0:1]
	s_cbranch_execz .LBB122_25
; %bb.24:
	ds_read_b128 v[9:12], v17 offset:176
	ds_read_b128 v[13:16], v17
	s_waitcnt lgkmcnt(0)
	v_add_f64 v[9:10], v[9:10], v[13:14]
	v_add_f64 v[11:12], v[11:12], v[15:16]
	ds_write_b128 v17, v[9:12]
	s_waitcnt lgkmcnt(0)
	ds_read_b128 v[9:12], v17
.LBB122_25:
	s_or_b64 exec, exec, s[0:1]
	s_waitcnt lgkmcnt(0)
	v_mov_b32_e32 v16, v12
	v_mov_b32_e32 v14, v10
	;; [unrolled: 1-line block ×4, first 2 shown]
.LBB122_26:
	v_cmp_gt_u32_e32 vcc, 11, v0
	s_and_b64 exec, exec, vcc
	s_cbranch_execz .LBB122_31
; %bb.27:
	s_waitcnt lgkmcnt(0)
	v_mul_f64 v[9:10], v[15:16], -v[7:8]
	v_mul_f64 v[11:12], v[5:6], v[15:16]
	v_cmp_eq_f64_e32 vcc, 0, v[1:2]
	v_cmp_eq_f64_e64 s[0:1], 0, v[3:4]
	v_fma_f64 v[5:6], v[5:6], v[13:14], v[9:10]
	v_fma_f64 v[7:8], v[7:8], v[13:14], v[11:12]
	s_and_b64 s[0:1], vcc, s[0:1]
	s_and_saveexec_b64 s[2:3], s[0:1]
	s_xor_b64 s[0:1], exec, s[2:3]
	s_cbranch_execz .LBB122_29
; %bb.28:
	v_mad_u64_u32 v[0:1], s[2:3], s6, 11, v[0:1]
	v_mov_b32_e32 v1, 0
	v_mov_b32_e32 v2, s9
	v_lshlrev_b64 v[0:1], 4, v[0:1]
	v_add_co_u32_e32 v0, vcc, s8, v0
	v_addc_co_u32_e32 v1, vcc, v2, v1, vcc
	global_store_dwordx4 v[0:1], v[5:8], off
                                        ; implicit-def: $vgpr0
                                        ; implicit-def: $vgpr1_vgpr2
                                        ; implicit-def: $vgpr5_vgpr6
.LBB122_29:
	s_andn2_saveexec_b64 s[0:1], s[0:1]
	s_cbranch_execz .LBB122_31
; %bb.30:
	v_mad_u64_u32 v[9:10], s[0:1], s6, 11, v[0:1]
	v_mov_b32_e32 v10, 0
	v_mov_b32_e32 v0, s9
	v_lshlrev_b64 v[9:10], 4, v[9:10]
	v_add_co_u32_e32 v13, vcc, s8, v9
	v_addc_co_u32_e32 v14, vcc, v0, v10, vcc
	global_load_dwordx4 v[9:12], v[13:14], off
	s_waitcnt vmcnt(0)
	v_fma_f64 v[5:6], v[1:2], v[9:10], v[5:6]
	v_fma_f64 v[7:8], v[3:4], v[9:10], v[7:8]
	v_fma_f64 v[3:4], -v[3:4], v[11:12], v[5:6]
	v_fma_f64 v[5:6], v[1:2], v[11:12], v[7:8]
	global_store_dwordx4 v[13:14], v[3:6], off
.LBB122_31:
	s_endpgm
	.section	.rodata,"a",@progbits
	.p2align	6, 0x0
	.amdhsa_kernel _ZN9rocsparseL22gebsrmvn_mxn_16_kernelILj33ELj11ELj3E21rocsparse_complex_numIdEEEvi20rocsparse_direction_NS_24const_host_device_scalarIT2_EEPKiS8_PKS5_iiSA_S6_PS5_21rocsparse_index_base_b
		.amdhsa_group_segment_fixed_size 528
		.amdhsa_private_segment_fixed_size 0
		.amdhsa_kernarg_size 96
		.amdhsa_user_sgpr_count 6
		.amdhsa_user_sgpr_private_segment_buffer 1
		.amdhsa_user_sgpr_dispatch_ptr 0
		.amdhsa_user_sgpr_queue_ptr 0
		.amdhsa_user_sgpr_kernarg_segment_ptr 1
		.amdhsa_user_sgpr_dispatch_id 0
		.amdhsa_user_sgpr_flat_scratch_init 0
		.amdhsa_user_sgpr_private_segment_size 0
		.amdhsa_uses_dynamic_stack 0
		.amdhsa_system_sgpr_private_segment_wavefront_offset 0
		.amdhsa_system_sgpr_workgroup_id_x 1
		.amdhsa_system_sgpr_workgroup_id_y 0
		.amdhsa_system_sgpr_workgroup_id_z 0
		.amdhsa_system_sgpr_workgroup_info 0
		.amdhsa_system_vgpr_workitem_id 0
		.amdhsa_next_free_vgpr 28
		.amdhsa_next_free_sgpr 18
		.amdhsa_reserve_vcc 1
		.amdhsa_reserve_flat_scratch 0
		.amdhsa_float_round_mode_32 0
		.amdhsa_float_round_mode_16_64 0
		.amdhsa_float_denorm_mode_32 3
		.amdhsa_float_denorm_mode_16_64 3
		.amdhsa_dx10_clamp 1
		.amdhsa_ieee_mode 1
		.amdhsa_fp16_overflow 0
		.amdhsa_exception_fp_ieee_invalid_op 0
		.amdhsa_exception_fp_denorm_src 0
		.amdhsa_exception_fp_ieee_div_zero 0
		.amdhsa_exception_fp_ieee_overflow 0
		.amdhsa_exception_fp_ieee_underflow 0
		.amdhsa_exception_fp_ieee_inexact 0
		.amdhsa_exception_int_div_zero 0
	.end_amdhsa_kernel
	.section	.text._ZN9rocsparseL22gebsrmvn_mxn_16_kernelILj33ELj11ELj3E21rocsparse_complex_numIdEEEvi20rocsparse_direction_NS_24const_host_device_scalarIT2_EEPKiS8_PKS5_iiSA_S6_PS5_21rocsparse_index_base_b,"axG",@progbits,_ZN9rocsparseL22gebsrmvn_mxn_16_kernelILj33ELj11ELj3E21rocsparse_complex_numIdEEEvi20rocsparse_direction_NS_24const_host_device_scalarIT2_EEPKiS8_PKS5_iiSA_S6_PS5_21rocsparse_index_base_b,comdat
.Lfunc_end122:
	.size	_ZN9rocsparseL22gebsrmvn_mxn_16_kernelILj33ELj11ELj3E21rocsparse_complex_numIdEEEvi20rocsparse_direction_NS_24const_host_device_scalarIT2_EEPKiS8_PKS5_iiSA_S6_PS5_21rocsparse_index_base_b, .Lfunc_end122-_ZN9rocsparseL22gebsrmvn_mxn_16_kernelILj33ELj11ELj3E21rocsparse_complex_numIdEEEvi20rocsparse_direction_NS_24const_host_device_scalarIT2_EEPKiS8_PKS5_iiSA_S6_PS5_21rocsparse_index_base_b
                                        ; -- End function
	.set _ZN9rocsparseL22gebsrmvn_mxn_16_kernelILj33ELj11ELj3E21rocsparse_complex_numIdEEEvi20rocsparse_direction_NS_24const_host_device_scalarIT2_EEPKiS8_PKS5_iiSA_S6_PS5_21rocsparse_index_base_b.num_vgpr, 28
	.set _ZN9rocsparseL22gebsrmvn_mxn_16_kernelILj33ELj11ELj3E21rocsparse_complex_numIdEEEvi20rocsparse_direction_NS_24const_host_device_scalarIT2_EEPKiS8_PKS5_iiSA_S6_PS5_21rocsparse_index_base_b.num_agpr, 0
	.set _ZN9rocsparseL22gebsrmvn_mxn_16_kernelILj33ELj11ELj3E21rocsparse_complex_numIdEEEvi20rocsparse_direction_NS_24const_host_device_scalarIT2_EEPKiS8_PKS5_iiSA_S6_PS5_21rocsparse_index_base_b.numbered_sgpr, 18
	.set _ZN9rocsparseL22gebsrmvn_mxn_16_kernelILj33ELj11ELj3E21rocsparse_complex_numIdEEEvi20rocsparse_direction_NS_24const_host_device_scalarIT2_EEPKiS8_PKS5_iiSA_S6_PS5_21rocsparse_index_base_b.num_named_barrier, 0
	.set _ZN9rocsparseL22gebsrmvn_mxn_16_kernelILj33ELj11ELj3E21rocsparse_complex_numIdEEEvi20rocsparse_direction_NS_24const_host_device_scalarIT2_EEPKiS8_PKS5_iiSA_S6_PS5_21rocsparse_index_base_b.private_seg_size, 0
	.set _ZN9rocsparseL22gebsrmvn_mxn_16_kernelILj33ELj11ELj3E21rocsparse_complex_numIdEEEvi20rocsparse_direction_NS_24const_host_device_scalarIT2_EEPKiS8_PKS5_iiSA_S6_PS5_21rocsparse_index_base_b.uses_vcc, 1
	.set _ZN9rocsparseL22gebsrmvn_mxn_16_kernelILj33ELj11ELj3E21rocsparse_complex_numIdEEEvi20rocsparse_direction_NS_24const_host_device_scalarIT2_EEPKiS8_PKS5_iiSA_S6_PS5_21rocsparse_index_base_b.uses_flat_scratch, 0
	.set _ZN9rocsparseL22gebsrmvn_mxn_16_kernelILj33ELj11ELj3E21rocsparse_complex_numIdEEEvi20rocsparse_direction_NS_24const_host_device_scalarIT2_EEPKiS8_PKS5_iiSA_S6_PS5_21rocsparse_index_base_b.has_dyn_sized_stack, 0
	.set _ZN9rocsparseL22gebsrmvn_mxn_16_kernelILj33ELj11ELj3E21rocsparse_complex_numIdEEEvi20rocsparse_direction_NS_24const_host_device_scalarIT2_EEPKiS8_PKS5_iiSA_S6_PS5_21rocsparse_index_base_b.has_recursion, 0
	.set _ZN9rocsparseL22gebsrmvn_mxn_16_kernelILj33ELj11ELj3E21rocsparse_complex_numIdEEEvi20rocsparse_direction_NS_24const_host_device_scalarIT2_EEPKiS8_PKS5_iiSA_S6_PS5_21rocsparse_index_base_b.has_indirect_call, 0
	.section	.AMDGPU.csdata,"",@progbits
; Kernel info:
; codeLenInByte = 1192
; TotalNumSgprs: 22
; NumVgprs: 28
; ScratchSize: 0
; MemoryBound: 0
; FloatMode: 240
; IeeeMode: 1
; LDSByteSize: 528 bytes/workgroup (compile time only)
; SGPRBlocks: 2
; VGPRBlocks: 6
; NumSGPRsForWavesPerEU: 22
; NumVGPRsForWavesPerEU: 28
; Occupancy: 9
; WaveLimiterHint : 1
; COMPUTE_PGM_RSRC2:SCRATCH_EN: 0
; COMPUTE_PGM_RSRC2:USER_SGPR: 6
; COMPUTE_PGM_RSRC2:TRAP_HANDLER: 0
; COMPUTE_PGM_RSRC2:TGID_X_EN: 1
; COMPUTE_PGM_RSRC2:TGID_Y_EN: 0
; COMPUTE_PGM_RSRC2:TGID_Z_EN: 0
; COMPUTE_PGM_RSRC2:TIDIG_COMP_CNT: 0
	.section	.text._ZN9rocsparseL22gebsrmvn_mxn_16_kernelILj44ELj11ELj4E21rocsparse_complex_numIdEEEvi20rocsparse_direction_NS_24const_host_device_scalarIT2_EEPKiS8_PKS5_iiSA_S6_PS5_21rocsparse_index_base_b,"axG",@progbits,_ZN9rocsparseL22gebsrmvn_mxn_16_kernelILj44ELj11ELj4E21rocsparse_complex_numIdEEEvi20rocsparse_direction_NS_24const_host_device_scalarIT2_EEPKiS8_PKS5_iiSA_S6_PS5_21rocsparse_index_base_b,comdat
	.globl	_ZN9rocsparseL22gebsrmvn_mxn_16_kernelILj44ELj11ELj4E21rocsparse_complex_numIdEEEvi20rocsparse_direction_NS_24const_host_device_scalarIT2_EEPKiS8_PKS5_iiSA_S6_PS5_21rocsparse_index_base_b ; -- Begin function _ZN9rocsparseL22gebsrmvn_mxn_16_kernelILj44ELj11ELj4E21rocsparse_complex_numIdEEEvi20rocsparse_direction_NS_24const_host_device_scalarIT2_EEPKiS8_PKS5_iiSA_S6_PS5_21rocsparse_index_base_b
	.p2align	8
	.type	_ZN9rocsparseL22gebsrmvn_mxn_16_kernelILj44ELj11ELj4E21rocsparse_complex_numIdEEEvi20rocsparse_direction_NS_24const_host_device_scalarIT2_EEPKiS8_PKS5_iiSA_S6_PS5_21rocsparse_index_base_b,@function
_ZN9rocsparseL22gebsrmvn_mxn_16_kernelILj44ELj11ELj4E21rocsparse_complex_numIdEEEvi20rocsparse_direction_NS_24const_host_device_scalarIT2_EEPKiS8_PKS5_iiSA_S6_PS5_21rocsparse_index_base_b: ; @_ZN9rocsparseL22gebsrmvn_mxn_16_kernelILj44ELj11ELj4E21rocsparse_complex_numIdEEEvi20rocsparse_direction_NS_24const_host_device_scalarIT2_EEPKiS8_PKS5_iiSA_S6_PS5_21rocsparse_index_base_b
; %bb.0:
	s_load_dwordx2 s[0:1], s[4:5], 0x8
	s_load_dwordx2 s[2:3], s[4:5], 0x40
	;; [unrolled: 1-line block ×3, first 2 shown]
	s_add_u32 s7, s4, 8
	s_addc_u32 s8, s5, 0
	s_add_u32 s9, s4, 64
	s_addc_u32 s12, s5, 0
	s_waitcnt lgkmcnt(0)
	s_bitcmp1_b32 s11, 0
	s_cselect_b32 s1, s8, s1
	s_cselect_b32 s0, s7, s0
	v_mov_b32_e32 v1, s0
	v_mov_b32_e32 v2, s1
	flat_load_dwordx4 v[5:8], v[1:2]
	s_cselect_b32 s0, s12, s3
	s_cselect_b32 s1, s9, s2
	v_mov_b32_e32 v1, s1
	v_mov_b32_e32 v2, s0
	flat_load_dwordx4 v[1:4], v[1:2]
	s_waitcnt vmcnt(0) lgkmcnt(0)
	v_cmp_eq_f64_e32 vcc, 0, v[5:6]
	v_cmp_eq_f64_e64 s[0:1], 0, v[7:8]
	s_and_b64 s[8:9], vcc, s[0:1]
	s_mov_b64 s[0:1], -1
	s_and_saveexec_b64 s[2:3], s[8:9]
	s_cbranch_execz .LBB123_2
; %bb.1:
	v_cmp_neq_f64_e32 vcc, 1.0, v[1:2]
	v_cmp_neq_f64_e64 s[0:1], 0, v[3:4]
	s_or_b64 s[0:1], vcc, s[0:1]
	s_orn2_b64 s[0:1], s[0:1], exec
.LBB123_2:
	s_or_b64 exec, exec, s[2:3]
	s_and_saveexec_b64 s[2:3], s[0:1]
	s_cbranch_execz .LBB123_31
; %bb.3:
	s_load_dword s2, s[4:5], 0x4
	s_load_dwordx2 s[0:1], s[4:5], 0x18
	v_and_b32_e32 v17, 3, v0
	v_mov_b32_e32 v18, v17
	s_waitcnt lgkmcnt(0)
	s_cmp_lg_u32 s2, 1
	s_cselect_b64 s[12:13], -1, 0
	s_and_b64 vcc, exec, s[12:13]
	s_cbranch_vccnz .LBB123_5
; %bb.4:
	v_mul_u32_u24_e32 v9, 0x1746, v0
	v_bfe_u32 v18, v9, 16, 2
.LBB123_5:
	s_ashr_i32 s7, s6, 31
	s_lshl_b64 s[2:3], s[6:7], 2
	s_add_u32 s0, s0, s2
	s_addc_u32 s1, s1, s3
	s_load_dwordx2 s[16:17], s[0:1], 0x0
	s_load_dwordx2 s[8:9], s[4:5], 0x50
	v_mov_b32_e32 v11, 0
	v_mov_b32_e32 v9, 0
	;; [unrolled: 1-line block ×3, first 2 shown]
	s_waitcnt lgkmcnt(0)
	s_cmp_ge_i32 s16, s17
	v_mov_b32_e32 v10, 0
	s_cbranch_scc1 .LBB123_10
; %bb.6:
	s_load_dwordx4 s[0:3], s[4:5], 0x20
	s_load_dwordx2 s[14:15], s[4:5], 0x38
	v_mad_u64_u32 v[9:10], s[4:5], s16, 44, v[0:1]
	s_mul_i32 s4, s10, 44
	v_mov_b32_e32 v11, 0
	v_subrev_u32_e32 v13, s4, v9
	v_mov_b32_e32 v12, 0
	v_mov_b32_e32 v9, v11
	s_sub_i32 s7, s17, s10
	s_sub_i32 s11, s16, s10
	v_mul_u32_u24_e32 v19, 0x5d2, v0
	v_mov_b32_e32 v14, 0
	v_mov_b32_e32 v10, v12
	s_branch .LBB123_8
.LBB123_7:                              ;   in Loop: Header=BB123_8 Depth=1
	s_or_b64 exec, exec, s[4:5]
	s_add_i32 s11, s11, 1
	s_cmp_ge_i32 s11, s7
	v_add_u32_e32 v13, 44, v13
	s_cbranch_scc1 .LBB123_10
.LBB123_8:                              ; =>This Inner Loop Header: Depth=1
	v_add_u32_sdwa v15, v19, s11 dst_sel:DWORD dst_unused:UNUSED_PAD src0_sel:WORD_1 src1_sel:DWORD
	v_cmp_gt_i32_e32 vcc, s7, v15
	s_and_saveexec_b64 s[4:5], vcc
	s_cbranch_execz .LBB123_7
; %bb.9:                                ;   in Loop: Header=BB123_8 Depth=1
	v_ashrrev_i32_e32 v16, 31, v15
	v_lshlrev_b64 v[15:16], 2, v[15:16]
	s_waitcnt lgkmcnt(0)
	v_mov_b32_e32 v20, s1
	v_add_co_u32_e32 v15, vcc, s0, v15
	v_addc_co_u32_e32 v16, vcc, v20, v16, vcc
	global_load_dword v24, v[15:16], off
	v_lshlrev_b64 v[15:16], 4, v[13:14]
	v_mov_b32_e32 v20, s3
	v_add_co_u32_e32 v15, vcc, s2, v15
	v_addc_co_u32_e32 v16, vcc, v20, v16, vcc
	global_load_dwordx4 v[20:23], v[15:16], off
	v_mov_b32_e32 v25, s15
	s_waitcnt vmcnt(1)
	v_subrev_u32_e32 v15, s10, v24
	v_lshl_or_b32 v15, v15, 2, v18
	v_ashrrev_i32_e32 v16, 31, v15
	v_lshlrev_b64 v[15:16], 4, v[15:16]
	v_add_co_u32_e32 v15, vcc, s14, v15
	v_addc_co_u32_e32 v16, vcc, v25, v16, vcc
	global_load_dwordx4 v[24:27], v[15:16], off
	s_waitcnt vmcnt(0)
	v_fma_f64 v[9:10], v[20:21], v[24:25], v[9:10]
	v_fma_f64 v[11:12], v[22:23], v[24:25], v[11:12]
	v_fma_f64 v[9:10], -v[22:23], v[26:27], v[9:10]
	v_fma_f64 v[11:12], v[20:21], v[26:27], v[11:12]
	s_branch .LBB123_7
.LBB123_10:
	v_lshlrev_b32_e32 v18, 4, v0
	s_and_b64 vcc, exec, s[12:13]
	ds_write_b128 v18, v[9:12]
	s_waitcnt lgkmcnt(0)
	; wave barrier
	s_cbranch_vccz .LBB123_18
; %bb.11:
	v_cmp_gt_u32_e32 vcc, 2, v17
	s_and_saveexec_b64 s[0:1], vcc
	s_cbranch_execz .LBB123_13
; %bb.12:
	ds_read_b128 v[13:16], v18
	ds_read_b128 v[19:22], v18 offset:32
	s_waitcnt lgkmcnt(0)
	v_add_f64 v[13:14], v[19:20], v[13:14]
	v_add_f64 v[15:16], v[21:22], v[15:16]
	ds_write_b128 v18, v[13:16]
.LBB123_13:
	s_or_b64 exec, exec, s[0:1]
	v_cmp_eq_u32_e32 vcc, 0, v17
	s_waitcnt lgkmcnt(0)
	; wave barrier
	s_and_saveexec_b64 s[0:1], vcc
	s_cbranch_execz .LBB123_15
; %bb.14:
	ds_read_b128 v[13:16], v18
	ds_read_b128 v[19:22], v18 offset:16
	s_waitcnt lgkmcnt(0)
	v_add_f64 v[13:14], v[19:20], v[13:14]
	v_add_f64 v[15:16], v[21:22], v[15:16]
	ds_write_b128 v18, v[13:16]
.LBB123_15:
	s_or_b64 exec, exec, s[0:1]
	v_mov_b32_e32 v16, v12
	v_mov_b32_e32 v14, v10
	v_cmp_gt_u32_e32 vcc, 11, v0
	v_mov_b32_e32 v15, v11
	v_mov_b32_e32 v13, v9
	s_waitcnt lgkmcnt(0)
	; wave barrier
	s_and_saveexec_b64 s[0:1], vcc
; %bb.16:
	v_mad_u32_u24 v13, v0, 48, v18
	ds_read_b128 v[13:16], v13
; %bb.17:
	s_or_b64 exec, exec, s[0:1]
	s_branch .LBB123_26
.LBB123_18:
                                        ; implicit-def: $vgpr15_vgpr16
	s_cbranch_execz .LBB123_26
; %bb.19:
	v_cmp_gt_u32_e32 vcc, 22, v0
	s_and_saveexec_b64 s[0:1], vcc
	s_cbranch_execz .LBB123_21
; %bb.20:
	s_waitcnt lgkmcnt(0)
	ds_read_b128 v[13:16], v18 offset:352
	ds_read_b128 v[19:22], v18
	s_waitcnt lgkmcnt(0)
	v_add_f64 v[13:14], v[13:14], v[19:20]
	v_add_f64 v[15:16], v[15:16], v[21:22]
	ds_write_b128 v18, v[13:16]
.LBB123_21:
	s_or_b64 exec, exec, s[0:1]
	v_cmp_lt_u32_e32 vcc, 10, v0
	s_waitcnt lgkmcnt(0)
	s_and_saveexec_b64 s[0:1], vcc
	s_xor_b64 s[0:1], exec, s[0:1]
; %bb.22:
                                        ; implicit-def: $vgpr18
; %bb.23:
	s_andn2_saveexec_b64 s[0:1], s[0:1]
	s_cbranch_execz .LBB123_25
; %bb.24:
	ds_read_b128 v[9:12], v18 offset:176
	ds_read_b128 v[13:16], v18
	s_waitcnt lgkmcnt(0)
	v_add_f64 v[9:10], v[9:10], v[13:14]
	v_add_f64 v[11:12], v[11:12], v[15:16]
	ds_write_b128 v18, v[9:12]
	s_waitcnt lgkmcnt(0)
	ds_read_b128 v[9:12], v18
.LBB123_25:
	s_or_b64 exec, exec, s[0:1]
	s_waitcnt lgkmcnt(0)
	v_mov_b32_e32 v16, v12
	v_mov_b32_e32 v14, v10
	;; [unrolled: 1-line block ×4, first 2 shown]
.LBB123_26:
	v_cmp_gt_u32_e32 vcc, 11, v0
	s_and_b64 exec, exec, vcc
	s_cbranch_execz .LBB123_31
; %bb.27:
	s_waitcnt lgkmcnt(0)
	v_mul_f64 v[9:10], v[15:16], -v[7:8]
	v_mul_f64 v[11:12], v[5:6], v[15:16]
	v_cmp_eq_f64_e32 vcc, 0, v[1:2]
	v_cmp_eq_f64_e64 s[0:1], 0, v[3:4]
	v_fma_f64 v[5:6], v[5:6], v[13:14], v[9:10]
	v_fma_f64 v[7:8], v[7:8], v[13:14], v[11:12]
	s_and_b64 s[0:1], vcc, s[0:1]
	s_and_saveexec_b64 s[2:3], s[0:1]
	s_xor_b64 s[0:1], exec, s[2:3]
	s_cbranch_execz .LBB123_29
; %bb.28:
	v_mad_u64_u32 v[0:1], s[2:3], s6, 11, v[0:1]
	v_mov_b32_e32 v1, 0
	v_mov_b32_e32 v2, s9
	v_lshlrev_b64 v[0:1], 4, v[0:1]
	v_add_co_u32_e32 v0, vcc, s8, v0
	v_addc_co_u32_e32 v1, vcc, v2, v1, vcc
	global_store_dwordx4 v[0:1], v[5:8], off
                                        ; implicit-def: $vgpr0
                                        ; implicit-def: $vgpr1_vgpr2
                                        ; implicit-def: $vgpr5_vgpr6
.LBB123_29:
	s_andn2_saveexec_b64 s[0:1], s[0:1]
	s_cbranch_execz .LBB123_31
; %bb.30:
	v_mad_u64_u32 v[9:10], s[0:1], s6, 11, v[0:1]
	v_mov_b32_e32 v10, 0
	v_mov_b32_e32 v0, s9
	v_lshlrev_b64 v[9:10], 4, v[9:10]
	v_add_co_u32_e32 v13, vcc, s8, v9
	v_addc_co_u32_e32 v14, vcc, v0, v10, vcc
	global_load_dwordx4 v[9:12], v[13:14], off
	s_waitcnt vmcnt(0)
	v_fma_f64 v[5:6], v[1:2], v[9:10], v[5:6]
	v_fma_f64 v[7:8], v[3:4], v[9:10], v[7:8]
	v_fma_f64 v[3:4], -v[3:4], v[11:12], v[5:6]
	v_fma_f64 v[5:6], v[1:2], v[11:12], v[7:8]
	global_store_dwordx4 v[13:14], v[3:6], off
.LBB123_31:
	s_endpgm
	.section	.rodata,"a",@progbits
	.p2align	6, 0x0
	.amdhsa_kernel _ZN9rocsparseL22gebsrmvn_mxn_16_kernelILj44ELj11ELj4E21rocsparse_complex_numIdEEEvi20rocsparse_direction_NS_24const_host_device_scalarIT2_EEPKiS8_PKS5_iiSA_S6_PS5_21rocsparse_index_base_b
		.amdhsa_group_segment_fixed_size 704
		.amdhsa_private_segment_fixed_size 0
		.amdhsa_kernarg_size 96
		.amdhsa_user_sgpr_count 6
		.amdhsa_user_sgpr_private_segment_buffer 1
		.amdhsa_user_sgpr_dispatch_ptr 0
		.amdhsa_user_sgpr_queue_ptr 0
		.amdhsa_user_sgpr_kernarg_segment_ptr 1
		.amdhsa_user_sgpr_dispatch_id 0
		.amdhsa_user_sgpr_flat_scratch_init 0
		.amdhsa_user_sgpr_private_segment_size 0
		.amdhsa_uses_dynamic_stack 0
		.amdhsa_system_sgpr_private_segment_wavefront_offset 0
		.amdhsa_system_sgpr_workgroup_id_x 1
		.amdhsa_system_sgpr_workgroup_id_y 0
		.amdhsa_system_sgpr_workgroup_id_z 0
		.amdhsa_system_sgpr_workgroup_info 0
		.amdhsa_system_vgpr_workitem_id 0
		.amdhsa_next_free_vgpr 28
		.amdhsa_next_free_sgpr 18
		.amdhsa_reserve_vcc 1
		.amdhsa_reserve_flat_scratch 0
		.amdhsa_float_round_mode_32 0
		.amdhsa_float_round_mode_16_64 0
		.amdhsa_float_denorm_mode_32 3
		.amdhsa_float_denorm_mode_16_64 3
		.amdhsa_dx10_clamp 1
		.amdhsa_ieee_mode 1
		.amdhsa_fp16_overflow 0
		.amdhsa_exception_fp_ieee_invalid_op 0
		.amdhsa_exception_fp_denorm_src 0
		.amdhsa_exception_fp_ieee_div_zero 0
		.amdhsa_exception_fp_ieee_overflow 0
		.amdhsa_exception_fp_ieee_underflow 0
		.amdhsa_exception_fp_ieee_inexact 0
		.amdhsa_exception_int_div_zero 0
	.end_amdhsa_kernel
	.section	.text._ZN9rocsparseL22gebsrmvn_mxn_16_kernelILj44ELj11ELj4E21rocsparse_complex_numIdEEEvi20rocsparse_direction_NS_24const_host_device_scalarIT2_EEPKiS8_PKS5_iiSA_S6_PS5_21rocsparse_index_base_b,"axG",@progbits,_ZN9rocsparseL22gebsrmvn_mxn_16_kernelILj44ELj11ELj4E21rocsparse_complex_numIdEEEvi20rocsparse_direction_NS_24const_host_device_scalarIT2_EEPKiS8_PKS5_iiSA_S6_PS5_21rocsparse_index_base_b,comdat
.Lfunc_end123:
	.size	_ZN9rocsparseL22gebsrmvn_mxn_16_kernelILj44ELj11ELj4E21rocsparse_complex_numIdEEEvi20rocsparse_direction_NS_24const_host_device_scalarIT2_EEPKiS8_PKS5_iiSA_S6_PS5_21rocsparse_index_base_b, .Lfunc_end123-_ZN9rocsparseL22gebsrmvn_mxn_16_kernelILj44ELj11ELj4E21rocsparse_complex_numIdEEEvi20rocsparse_direction_NS_24const_host_device_scalarIT2_EEPKiS8_PKS5_iiSA_S6_PS5_21rocsparse_index_base_b
                                        ; -- End function
	.set _ZN9rocsparseL22gebsrmvn_mxn_16_kernelILj44ELj11ELj4E21rocsparse_complex_numIdEEEvi20rocsparse_direction_NS_24const_host_device_scalarIT2_EEPKiS8_PKS5_iiSA_S6_PS5_21rocsparse_index_base_b.num_vgpr, 28
	.set _ZN9rocsparseL22gebsrmvn_mxn_16_kernelILj44ELj11ELj4E21rocsparse_complex_numIdEEEvi20rocsparse_direction_NS_24const_host_device_scalarIT2_EEPKiS8_PKS5_iiSA_S6_PS5_21rocsparse_index_base_b.num_agpr, 0
	.set _ZN9rocsparseL22gebsrmvn_mxn_16_kernelILj44ELj11ELj4E21rocsparse_complex_numIdEEEvi20rocsparse_direction_NS_24const_host_device_scalarIT2_EEPKiS8_PKS5_iiSA_S6_PS5_21rocsparse_index_base_b.numbered_sgpr, 18
	.set _ZN9rocsparseL22gebsrmvn_mxn_16_kernelILj44ELj11ELj4E21rocsparse_complex_numIdEEEvi20rocsparse_direction_NS_24const_host_device_scalarIT2_EEPKiS8_PKS5_iiSA_S6_PS5_21rocsparse_index_base_b.num_named_barrier, 0
	.set _ZN9rocsparseL22gebsrmvn_mxn_16_kernelILj44ELj11ELj4E21rocsparse_complex_numIdEEEvi20rocsparse_direction_NS_24const_host_device_scalarIT2_EEPKiS8_PKS5_iiSA_S6_PS5_21rocsparse_index_base_b.private_seg_size, 0
	.set _ZN9rocsparseL22gebsrmvn_mxn_16_kernelILj44ELj11ELj4E21rocsparse_complex_numIdEEEvi20rocsparse_direction_NS_24const_host_device_scalarIT2_EEPKiS8_PKS5_iiSA_S6_PS5_21rocsparse_index_base_b.uses_vcc, 1
	.set _ZN9rocsparseL22gebsrmvn_mxn_16_kernelILj44ELj11ELj4E21rocsparse_complex_numIdEEEvi20rocsparse_direction_NS_24const_host_device_scalarIT2_EEPKiS8_PKS5_iiSA_S6_PS5_21rocsparse_index_base_b.uses_flat_scratch, 0
	.set _ZN9rocsparseL22gebsrmvn_mxn_16_kernelILj44ELj11ELj4E21rocsparse_complex_numIdEEEvi20rocsparse_direction_NS_24const_host_device_scalarIT2_EEPKiS8_PKS5_iiSA_S6_PS5_21rocsparse_index_base_b.has_dyn_sized_stack, 0
	.set _ZN9rocsparseL22gebsrmvn_mxn_16_kernelILj44ELj11ELj4E21rocsparse_complex_numIdEEEvi20rocsparse_direction_NS_24const_host_device_scalarIT2_EEPKiS8_PKS5_iiSA_S6_PS5_21rocsparse_index_base_b.has_recursion, 0
	.set _ZN9rocsparseL22gebsrmvn_mxn_16_kernelILj44ELj11ELj4E21rocsparse_complex_numIdEEEvi20rocsparse_direction_NS_24const_host_device_scalarIT2_EEPKiS8_PKS5_iiSA_S6_PS5_21rocsparse_index_base_b.has_indirect_call, 0
	.section	.AMDGPU.csdata,"",@progbits
; Kernel info:
; codeLenInByte = 1128
; TotalNumSgprs: 22
; NumVgprs: 28
; ScratchSize: 0
; MemoryBound: 0
; FloatMode: 240
; IeeeMode: 1
; LDSByteSize: 704 bytes/workgroup (compile time only)
; SGPRBlocks: 2
; VGPRBlocks: 6
; NumSGPRsForWavesPerEU: 22
; NumVGPRsForWavesPerEU: 28
; Occupancy: 9
; WaveLimiterHint : 1
; COMPUTE_PGM_RSRC2:SCRATCH_EN: 0
; COMPUTE_PGM_RSRC2:USER_SGPR: 6
; COMPUTE_PGM_RSRC2:TRAP_HANDLER: 0
; COMPUTE_PGM_RSRC2:TGID_X_EN: 1
; COMPUTE_PGM_RSRC2:TGID_Y_EN: 0
; COMPUTE_PGM_RSRC2:TGID_Z_EN: 0
; COMPUTE_PGM_RSRC2:TIDIG_COMP_CNT: 0
	.section	.text._ZN9rocsparseL22gebsrmvn_mxn_16_kernelILj55ELj11ELj5E21rocsparse_complex_numIdEEEvi20rocsparse_direction_NS_24const_host_device_scalarIT2_EEPKiS8_PKS5_iiSA_S6_PS5_21rocsparse_index_base_b,"axG",@progbits,_ZN9rocsparseL22gebsrmvn_mxn_16_kernelILj55ELj11ELj5E21rocsparse_complex_numIdEEEvi20rocsparse_direction_NS_24const_host_device_scalarIT2_EEPKiS8_PKS5_iiSA_S6_PS5_21rocsparse_index_base_b,comdat
	.globl	_ZN9rocsparseL22gebsrmvn_mxn_16_kernelILj55ELj11ELj5E21rocsparse_complex_numIdEEEvi20rocsparse_direction_NS_24const_host_device_scalarIT2_EEPKiS8_PKS5_iiSA_S6_PS5_21rocsparse_index_base_b ; -- Begin function _ZN9rocsparseL22gebsrmvn_mxn_16_kernelILj55ELj11ELj5E21rocsparse_complex_numIdEEEvi20rocsparse_direction_NS_24const_host_device_scalarIT2_EEPKiS8_PKS5_iiSA_S6_PS5_21rocsparse_index_base_b
	.p2align	8
	.type	_ZN9rocsparseL22gebsrmvn_mxn_16_kernelILj55ELj11ELj5E21rocsparse_complex_numIdEEEvi20rocsparse_direction_NS_24const_host_device_scalarIT2_EEPKiS8_PKS5_iiSA_S6_PS5_21rocsparse_index_base_b,@function
_ZN9rocsparseL22gebsrmvn_mxn_16_kernelILj55ELj11ELj5E21rocsparse_complex_numIdEEEvi20rocsparse_direction_NS_24const_host_device_scalarIT2_EEPKiS8_PKS5_iiSA_S6_PS5_21rocsparse_index_base_b: ; @_ZN9rocsparseL22gebsrmvn_mxn_16_kernelILj55ELj11ELj5E21rocsparse_complex_numIdEEEvi20rocsparse_direction_NS_24const_host_device_scalarIT2_EEPKiS8_PKS5_iiSA_S6_PS5_21rocsparse_index_base_b
; %bb.0:
	s_load_dwordx2 s[0:1], s[4:5], 0x8
	s_load_dwordx2 s[2:3], s[4:5], 0x40
	;; [unrolled: 1-line block ×3, first 2 shown]
	s_add_u32 s7, s4, 8
	s_addc_u32 s8, s5, 0
	s_add_u32 s9, s4, 64
	s_addc_u32 s12, s5, 0
	s_waitcnt lgkmcnt(0)
	s_bitcmp1_b32 s11, 0
	s_cselect_b32 s1, s8, s1
	s_cselect_b32 s0, s7, s0
	v_mov_b32_e32 v1, s0
	v_mov_b32_e32 v2, s1
	flat_load_dwordx4 v[5:8], v[1:2]
	s_cselect_b32 s0, s12, s3
	s_cselect_b32 s1, s9, s2
	v_mov_b32_e32 v1, s1
	v_mov_b32_e32 v2, s0
	flat_load_dwordx4 v[1:4], v[1:2]
	s_waitcnt vmcnt(0) lgkmcnt(0)
	v_cmp_eq_f64_e32 vcc, 0, v[5:6]
	v_cmp_eq_f64_e64 s[0:1], 0, v[7:8]
	s_and_b64 s[8:9], vcc, s[0:1]
	s_mov_b64 s[0:1], -1
	s_and_saveexec_b64 s[2:3], s[8:9]
	s_cbranch_execz .LBB124_2
; %bb.1:
	v_cmp_neq_f64_e32 vcc, 1.0, v[1:2]
	v_cmp_neq_f64_e64 s[0:1], 0, v[3:4]
	s_or_b64 s[0:1], vcc, s[0:1]
	s_orn2_b64 s[0:1], s[0:1], exec
.LBB124_2:
	s_or_b64 exec, exec, s[2:3]
	s_and_saveexec_b64 s[2:3], s[0:1]
	s_cbranch_execz .LBB124_35
; %bb.3:
	s_load_dwordx2 s[0:1], s[4:5], 0x18
	s_load_dword s2, s[4:5], 0x4
	v_mul_u32_u24_e32 v10, 0x3334, v0
	v_mov_b32_e32 v9, 5
	v_mul_lo_u16_sdwa v10, v10, v9 dst_sel:DWORD dst_unused:UNUSED_PAD src0_sel:WORD_1 src1_sel:DWORD
	v_sub_u16_e32 v18, v0, v10
	s_waitcnt lgkmcnt(0)
	s_cmp_lg_u32 s2, 1
	s_cselect_b64 s[12:13], -1, 0
	s_and_b64 vcc, exec, s[12:13]
	v_mov_b32_e32 v13, v18
	s_cbranch_vccnz .LBB124_5
; %bb.4:
	s_movk_i32 s2, 0x1746
	v_mul_u32_u24_sdwa v10, v0, s2 dst_sel:DWORD dst_unused:UNUSED_PAD src0_sel:WORD_0 src1_sel:DWORD
	v_mov_b32_e32 v11, 52
	v_mul_lo_u16_sdwa v11, v10, v11 dst_sel:DWORD dst_unused:UNUSED_PAD src0_sel:WORD_1 src1_sel:DWORD
	v_mul_lo_u16_sdwa v9, v11, v9 dst_sel:DWORD dst_unused:UNUSED_PAD src0_sel:BYTE_1 src1_sel:DWORD
	v_sub_u16_sdwa v9, v10, v9 dst_sel:DWORD dst_unused:UNUSED_PAD src0_sel:WORD_1 src1_sel:DWORD
	v_and_b32_e32 v13, 0xff, v9
.LBB124_5:
	s_ashr_i32 s7, s6, 31
	s_lshl_b64 s[2:3], s[6:7], 2
	s_add_u32 s0, s0, s2
	s_addc_u32 s1, s1, s3
	s_load_dwordx2 s[16:17], s[0:1], 0x0
	s_load_dwordx2 s[8:9], s[4:5], 0x50
	v_mov_b32_e32 v11, 0
	v_mov_b32_e32 v9, 0
	;; [unrolled: 1-line block ×3, first 2 shown]
	s_waitcnt lgkmcnt(0)
	s_cmp_ge_i32 s16, s17
	v_mov_b32_e32 v10, 0
	s_cbranch_scc1 .LBB124_10
; %bb.6:
	s_load_dwordx4 s[0:3], s[4:5], 0x20
	s_load_dwordx2 s[14:15], s[4:5], 0x38
	v_mad_u64_u32 v[9:10], s[4:5], s16, 55, v[0:1]
	s_movk_i32 s4, 0x4a8
	v_mul_u32_u24_sdwa v19, v0, s4 dst_sel:DWORD dst_unused:UNUSED_PAD src0_sel:WORD_0 src1_sel:DWORD
	s_mul_i32 s4, s10, 55
	v_mov_b32_e32 v11, 0
	v_subrev_u32_e32 v14, s4, v9
	v_mov_b32_e32 v12, 0
	v_mov_b32_e32 v9, v11
	s_sub_i32 s7, s17, s10
	s_sub_i32 s11, s16, s10
	v_mov_b32_e32 v15, 0
	v_mov_b32_e32 v10, v12
	s_branch .LBB124_8
.LBB124_7:                              ;   in Loop: Header=BB124_8 Depth=1
	s_or_b64 exec, exec, s[4:5]
	s_add_i32 s11, s11, 1
	s_cmp_ge_i32 s11, s7
	v_add_u32_e32 v14, 55, v14
	s_cbranch_scc1 .LBB124_10
.LBB124_8:                              ; =>This Inner Loop Header: Depth=1
	v_add_u32_sdwa v16, v19, s11 dst_sel:DWORD dst_unused:UNUSED_PAD src0_sel:WORD_1 src1_sel:DWORD
	v_cmp_gt_i32_e32 vcc, s7, v16
	s_and_saveexec_b64 s[4:5], vcc
	s_cbranch_execz .LBB124_7
; %bb.9:                                ;   in Loop: Header=BB124_8 Depth=1
	v_ashrrev_i32_e32 v17, 31, v16
	v_lshlrev_b64 v[16:17], 2, v[16:17]
	s_waitcnt lgkmcnt(0)
	v_mov_b32_e32 v20, s1
	v_add_co_u32_e32 v16, vcc, s0, v16
	v_addc_co_u32_e32 v17, vcc, v20, v17, vcc
	global_load_dword v20, v[16:17], off
	v_lshlrev_b64 v[16:17], 4, v[14:15]
	v_mov_b32_e32 v21, s3
	v_add_co_u32_e32 v16, vcc, s2, v16
	v_addc_co_u32_e32 v17, vcc, v21, v17, vcc
	v_mov_b32_e32 v26, s15
	s_waitcnt vmcnt(0)
	v_subrev_u32_e32 v20, s10, v20
	v_mad_u64_u32 v[24:25], s[16:17], v20, 5, v[13:14]
	global_load_dwordx4 v[20:23], v[16:17], off
	v_ashrrev_i32_e32 v25, 31, v24
	v_lshlrev_b64 v[16:17], 4, v[24:25]
	v_add_co_u32_e32 v16, vcc, s14, v16
	v_addc_co_u32_e32 v17, vcc, v26, v17, vcc
	global_load_dwordx4 v[24:27], v[16:17], off
	s_waitcnt vmcnt(0)
	v_fma_f64 v[9:10], v[20:21], v[24:25], v[9:10]
	v_fma_f64 v[11:12], v[22:23], v[24:25], v[11:12]
	v_fma_f64 v[9:10], -v[22:23], v[26:27], v[9:10]
	v_fma_f64 v[11:12], v[20:21], v[26:27], v[11:12]
	s_branch .LBB124_7
.LBB124_10:
	v_lshlrev_b32_e32 v17, 4, v0
	s_and_b64 vcc, exec, s[12:13]
	ds_write_b128 v17, v[9:12]
	s_waitcnt lgkmcnt(0)
	; wave barrier
	s_cbranch_vccz .LBB124_20
; %bb.11:
	v_cmp_eq_u16_e32 vcc, 0, v18
	s_and_saveexec_b64 s[0:1], vcc
	s_cbranch_execz .LBB124_13
; %bb.12:
	ds_read_b128 v[13:16], v17 offset:64
	ds_read_b128 v[19:22], v17
	s_waitcnt lgkmcnt(0)
	v_add_f64 v[13:14], v[13:14], v[19:20]
	v_add_f64 v[15:16], v[15:16], v[21:22]
	ds_write_b128 v17, v[13:16]
.LBB124_13:
	s_or_b64 exec, exec, s[0:1]
	v_cmp_gt_u16_e64 s[0:1], 2, v18
	s_waitcnt lgkmcnt(0)
	; wave barrier
	s_and_saveexec_b64 s[2:3], s[0:1]
	s_cbranch_execz .LBB124_15
; %bb.14:
	ds_read_b128 v[13:16], v17
	ds_read_b128 v[18:21], v17 offset:32
	s_waitcnt lgkmcnt(0)
	v_add_f64 v[13:14], v[18:19], v[13:14]
	v_add_f64 v[15:16], v[20:21], v[15:16]
	ds_write_b128 v17, v[13:16]
.LBB124_15:
	s_or_b64 exec, exec, s[2:3]
	s_waitcnt lgkmcnt(0)
	; wave barrier
	s_and_saveexec_b64 s[0:1], vcc
	s_cbranch_execz .LBB124_17
; %bb.16:
	ds_read_b128 v[13:16], v17
	ds_read_b128 v[18:21], v17 offset:16
	s_waitcnt lgkmcnt(0)
	v_add_f64 v[13:14], v[18:19], v[13:14]
	v_add_f64 v[15:16], v[20:21], v[15:16]
	ds_write_b128 v17, v[13:16]
.LBB124_17:
	s_or_b64 exec, exec, s[0:1]
	v_mov_b32_e32 v16, v12
	v_mov_b32_e32 v14, v10
	v_cmp_gt_u32_e32 vcc, 11, v0
	v_mov_b32_e32 v15, v11
	v_mov_b32_e32 v13, v9
	s_waitcnt lgkmcnt(0)
	; wave barrier
	s_and_saveexec_b64 s[0:1], vcc
; %bb.18:
	v_lshl_add_u32 v13, v0, 6, v17
	ds_read_b128 v[13:16], v13
; %bb.19:
	s_or_b64 exec, exec, s[0:1]
	v_cmp_gt_u32_e64 s[0:1], 11, v0
	s_branch .LBB124_30
.LBB124_20:
                                        ; implicit-def: $vgpr15_vgpr16
	v_cmp_gt_u32_e64 s[0:1], 11, v0
	s_cbranch_execz .LBB124_30
; %bb.21:
	v_cmp_lt_u32_e32 vcc, 10, v0
	s_and_saveexec_b64 s[2:3], s[0:1]
	s_cbranch_execz .LBB124_23
; %bb.22:
	s_waitcnt lgkmcnt(0)
	ds_read_b128 v[13:16], v17 offset:704
	ds_read_b128 v[18:21], v17
	s_waitcnt lgkmcnt(0)
	v_add_f64 v[13:14], v[13:14], v[18:19]
	v_add_f64 v[15:16], v[15:16], v[20:21]
	ds_write_b128 v17, v[13:16]
.LBB124_23:
	s_or_b64 exec, exec, s[2:3]
	v_cmp_gt_u32_e64 s[0:1], 22, v0
	s_waitcnt lgkmcnt(0)
	; wave barrier
	s_and_saveexec_b64 s[2:3], s[0:1]
	s_cbranch_execz .LBB124_25
; %bb.24:
	ds_read_b128 v[13:16], v17 offset:352
	ds_read_b128 v[18:21], v17
	s_waitcnt lgkmcnt(0)
	v_add_f64 v[13:14], v[13:14], v[18:19]
	v_add_f64 v[15:16], v[15:16], v[20:21]
	ds_write_b128 v17, v[13:16]
.LBB124_25:
	s_or_b64 exec, exec, s[2:3]
	s_waitcnt lgkmcnt(0)
	s_and_saveexec_b64 s[0:1], vcc
	s_xor_b64 s[0:1], exec, s[0:1]
; %bb.26:
                                        ; implicit-def: $vgpr17
; %bb.27:
	s_andn2_saveexec_b64 s[0:1], s[0:1]
	s_cbranch_execz .LBB124_29
; %bb.28:
	ds_read_b128 v[9:12], v17 offset:176
	ds_read_b128 v[13:16], v17
	s_waitcnt lgkmcnt(0)
	v_add_f64 v[9:10], v[9:10], v[13:14]
	v_add_f64 v[11:12], v[11:12], v[15:16]
	ds_write_b128 v17, v[9:12]
	s_waitcnt lgkmcnt(0)
	ds_read_b128 v[9:12], v17
.LBB124_29:
	s_or_b64 exec, exec, s[0:1]
	s_waitcnt lgkmcnt(0)
	v_mov_b32_e32 v16, v12
	v_mov_b32_e32 v14, v10
	v_mov_b32_e32 v15, v11
	v_mov_b32_e32 v13, v9
.LBB124_30:
	v_cmp_gt_u32_e32 vcc, 11, v0
	s_and_b64 exec, exec, vcc
	s_cbranch_execz .LBB124_35
; %bb.31:
	s_waitcnt lgkmcnt(0)
	v_mul_f64 v[9:10], v[15:16], -v[7:8]
	v_mul_f64 v[11:12], v[5:6], v[15:16]
	v_cmp_eq_f64_e32 vcc, 0, v[1:2]
	v_cmp_eq_f64_e64 s[0:1], 0, v[3:4]
	v_fma_f64 v[5:6], v[5:6], v[13:14], v[9:10]
	v_fma_f64 v[7:8], v[7:8], v[13:14], v[11:12]
	s_and_b64 s[0:1], vcc, s[0:1]
	s_and_saveexec_b64 s[2:3], s[0:1]
	s_xor_b64 s[0:1], exec, s[2:3]
	s_cbranch_execz .LBB124_33
; %bb.32:
	v_mad_u64_u32 v[0:1], s[2:3], s6, 11, v[0:1]
	v_mov_b32_e32 v1, 0
	v_mov_b32_e32 v2, s9
	v_lshlrev_b64 v[0:1], 4, v[0:1]
	v_add_co_u32_e32 v0, vcc, s8, v0
	v_addc_co_u32_e32 v1, vcc, v2, v1, vcc
	global_store_dwordx4 v[0:1], v[5:8], off
                                        ; implicit-def: $vgpr0
                                        ; implicit-def: $vgpr1_vgpr2
                                        ; implicit-def: $vgpr5_vgpr6
.LBB124_33:
	s_andn2_saveexec_b64 s[0:1], s[0:1]
	s_cbranch_execz .LBB124_35
; %bb.34:
	v_mad_u64_u32 v[9:10], s[0:1], s6, 11, v[0:1]
	v_mov_b32_e32 v10, 0
	v_mov_b32_e32 v0, s9
	v_lshlrev_b64 v[9:10], 4, v[9:10]
	v_add_co_u32_e32 v13, vcc, s8, v9
	v_addc_co_u32_e32 v14, vcc, v0, v10, vcc
	global_load_dwordx4 v[9:12], v[13:14], off
	s_waitcnt vmcnt(0)
	v_fma_f64 v[5:6], v[1:2], v[9:10], v[5:6]
	v_fma_f64 v[7:8], v[3:4], v[9:10], v[7:8]
	v_fma_f64 v[3:4], -v[3:4], v[11:12], v[5:6]
	v_fma_f64 v[5:6], v[1:2], v[11:12], v[7:8]
	global_store_dwordx4 v[13:14], v[3:6], off
.LBB124_35:
	s_endpgm
	.section	.rodata,"a",@progbits
	.p2align	6, 0x0
	.amdhsa_kernel _ZN9rocsparseL22gebsrmvn_mxn_16_kernelILj55ELj11ELj5E21rocsparse_complex_numIdEEEvi20rocsparse_direction_NS_24const_host_device_scalarIT2_EEPKiS8_PKS5_iiSA_S6_PS5_21rocsparse_index_base_b
		.amdhsa_group_segment_fixed_size 880
		.amdhsa_private_segment_fixed_size 0
		.amdhsa_kernarg_size 96
		.amdhsa_user_sgpr_count 6
		.amdhsa_user_sgpr_private_segment_buffer 1
		.amdhsa_user_sgpr_dispatch_ptr 0
		.amdhsa_user_sgpr_queue_ptr 0
		.amdhsa_user_sgpr_kernarg_segment_ptr 1
		.amdhsa_user_sgpr_dispatch_id 0
		.amdhsa_user_sgpr_flat_scratch_init 0
		.amdhsa_user_sgpr_private_segment_size 0
		.amdhsa_uses_dynamic_stack 0
		.amdhsa_system_sgpr_private_segment_wavefront_offset 0
		.amdhsa_system_sgpr_workgroup_id_x 1
		.amdhsa_system_sgpr_workgroup_id_y 0
		.amdhsa_system_sgpr_workgroup_id_z 0
		.amdhsa_system_sgpr_workgroup_info 0
		.amdhsa_system_vgpr_workitem_id 0
		.amdhsa_next_free_vgpr 28
		.amdhsa_next_free_sgpr 18
		.amdhsa_reserve_vcc 1
		.amdhsa_reserve_flat_scratch 0
		.amdhsa_float_round_mode_32 0
		.amdhsa_float_round_mode_16_64 0
		.amdhsa_float_denorm_mode_32 3
		.amdhsa_float_denorm_mode_16_64 3
		.amdhsa_dx10_clamp 1
		.amdhsa_ieee_mode 1
		.amdhsa_fp16_overflow 0
		.amdhsa_exception_fp_ieee_invalid_op 0
		.amdhsa_exception_fp_denorm_src 0
		.amdhsa_exception_fp_ieee_div_zero 0
		.amdhsa_exception_fp_ieee_overflow 0
		.amdhsa_exception_fp_ieee_underflow 0
		.amdhsa_exception_fp_ieee_inexact 0
		.amdhsa_exception_int_div_zero 0
	.end_amdhsa_kernel
	.section	.text._ZN9rocsparseL22gebsrmvn_mxn_16_kernelILj55ELj11ELj5E21rocsparse_complex_numIdEEEvi20rocsparse_direction_NS_24const_host_device_scalarIT2_EEPKiS8_PKS5_iiSA_S6_PS5_21rocsparse_index_base_b,"axG",@progbits,_ZN9rocsparseL22gebsrmvn_mxn_16_kernelILj55ELj11ELj5E21rocsparse_complex_numIdEEEvi20rocsparse_direction_NS_24const_host_device_scalarIT2_EEPKiS8_PKS5_iiSA_S6_PS5_21rocsparse_index_base_b,comdat
.Lfunc_end124:
	.size	_ZN9rocsparseL22gebsrmvn_mxn_16_kernelILj55ELj11ELj5E21rocsparse_complex_numIdEEEvi20rocsparse_direction_NS_24const_host_device_scalarIT2_EEPKiS8_PKS5_iiSA_S6_PS5_21rocsparse_index_base_b, .Lfunc_end124-_ZN9rocsparseL22gebsrmvn_mxn_16_kernelILj55ELj11ELj5E21rocsparse_complex_numIdEEEvi20rocsparse_direction_NS_24const_host_device_scalarIT2_EEPKiS8_PKS5_iiSA_S6_PS5_21rocsparse_index_base_b
                                        ; -- End function
	.set _ZN9rocsparseL22gebsrmvn_mxn_16_kernelILj55ELj11ELj5E21rocsparse_complex_numIdEEEvi20rocsparse_direction_NS_24const_host_device_scalarIT2_EEPKiS8_PKS5_iiSA_S6_PS5_21rocsparse_index_base_b.num_vgpr, 28
	.set _ZN9rocsparseL22gebsrmvn_mxn_16_kernelILj55ELj11ELj5E21rocsparse_complex_numIdEEEvi20rocsparse_direction_NS_24const_host_device_scalarIT2_EEPKiS8_PKS5_iiSA_S6_PS5_21rocsparse_index_base_b.num_agpr, 0
	.set _ZN9rocsparseL22gebsrmvn_mxn_16_kernelILj55ELj11ELj5E21rocsparse_complex_numIdEEEvi20rocsparse_direction_NS_24const_host_device_scalarIT2_EEPKiS8_PKS5_iiSA_S6_PS5_21rocsparse_index_base_b.numbered_sgpr, 18
	.set _ZN9rocsparseL22gebsrmvn_mxn_16_kernelILj55ELj11ELj5E21rocsparse_complex_numIdEEEvi20rocsparse_direction_NS_24const_host_device_scalarIT2_EEPKiS8_PKS5_iiSA_S6_PS5_21rocsparse_index_base_b.num_named_barrier, 0
	.set _ZN9rocsparseL22gebsrmvn_mxn_16_kernelILj55ELj11ELj5E21rocsparse_complex_numIdEEEvi20rocsparse_direction_NS_24const_host_device_scalarIT2_EEPKiS8_PKS5_iiSA_S6_PS5_21rocsparse_index_base_b.private_seg_size, 0
	.set _ZN9rocsparseL22gebsrmvn_mxn_16_kernelILj55ELj11ELj5E21rocsparse_complex_numIdEEEvi20rocsparse_direction_NS_24const_host_device_scalarIT2_EEPKiS8_PKS5_iiSA_S6_PS5_21rocsparse_index_base_b.uses_vcc, 1
	.set _ZN9rocsparseL22gebsrmvn_mxn_16_kernelILj55ELj11ELj5E21rocsparse_complex_numIdEEEvi20rocsparse_direction_NS_24const_host_device_scalarIT2_EEPKiS8_PKS5_iiSA_S6_PS5_21rocsparse_index_base_b.uses_flat_scratch, 0
	.set _ZN9rocsparseL22gebsrmvn_mxn_16_kernelILj55ELj11ELj5E21rocsparse_complex_numIdEEEvi20rocsparse_direction_NS_24const_host_device_scalarIT2_EEPKiS8_PKS5_iiSA_S6_PS5_21rocsparse_index_base_b.has_dyn_sized_stack, 0
	.set _ZN9rocsparseL22gebsrmvn_mxn_16_kernelILj55ELj11ELj5E21rocsparse_complex_numIdEEEvi20rocsparse_direction_NS_24const_host_device_scalarIT2_EEPKiS8_PKS5_iiSA_S6_PS5_21rocsparse_index_base_b.has_recursion, 0
	.set _ZN9rocsparseL22gebsrmvn_mxn_16_kernelILj55ELj11ELj5E21rocsparse_complex_numIdEEEvi20rocsparse_direction_NS_24const_host_device_scalarIT2_EEPKiS8_PKS5_iiSA_S6_PS5_21rocsparse_index_base_b.has_indirect_call, 0
	.section	.AMDGPU.csdata,"",@progbits
; Kernel info:
; codeLenInByte = 1328
; TotalNumSgprs: 22
; NumVgprs: 28
; ScratchSize: 0
; MemoryBound: 0
; FloatMode: 240
; IeeeMode: 1
; LDSByteSize: 880 bytes/workgroup (compile time only)
; SGPRBlocks: 2
; VGPRBlocks: 6
; NumSGPRsForWavesPerEU: 22
; NumVGPRsForWavesPerEU: 28
; Occupancy: 9
; WaveLimiterHint : 1
; COMPUTE_PGM_RSRC2:SCRATCH_EN: 0
; COMPUTE_PGM_RSRC2:USER_SGPR: 6
; COMPUTE_PGM_RSRC2:TRAP_HANDLER: 0
; COMPUTE_PGM_RSRC2:TGID_X_EN: 1
; COMPUTE_PGM_RSRC2:TGID_Y_EN: 0
; COMPUTE_PGM_RSRC2:TGID_Z_EN: 0
; COMPUTE_PGM_RSRC2:TIDIG_COMP_CNT: 0
	.section	.text._ZN9rocsparseL22gebsrmvn_mxn_16_kernelILj66ELj11ELj6E21rocsparse_complex_numIdEEEvi20rocsparse_direction_NS_24const_host_device_scalarIT2_EEPKiS8_PKS5_iiSA_S6_PS5_21rocsparse_index_base_b,"axG",@progbits,_ZN9rocsparseL22gebsrmvn_mxn_16_kernelILj66ELj11ELj6E21rocsparse_complex_numIdEEEvi20rocsparse_direction_NS_24const_host_device_scalarIT2_EEPKiS8_PKS5_iiSA_S6_PS5_21rocsparse_index_base_b,comdat
	.globl	_ZN9rocsparseL22gebsrmvn_mxn_16_kernelILj66ELj11ELj6E21rocsparse_complex_numIdEEEvi20rocsparse_direction_NS_24const_host_device_scalarIT2_EEPKiS8_PKS5_iiSA_S6_PS5_21rocsparse_index_base_b ; -- Begin function _ZN9rocsparseL22gebsrmvn_mxn_16_kernelILj66ELj11ELj6E21rocsparse_complex_numIdEEEvi20rocsparse_direction_NS_24const_host_device_scalarIT2_EEPKiS8_PKS5_iiSA_S6_PS5_21rocsparse_index_base_b
	.p2align	8
	.type	_ZN9rocsparseL22gebsrmvn_mxn_16_kernelILj66ELj11ELj6E21rocsparse_complex_numIdEEEvi20rocsparse_direction_NS_24const_host_device_scalarIT2_EEPKiS8_PKS5_iiSA_S6_PS5_21rocsparse_index_base_b,@function
_ZN9rocsparseL22gebsrmvn_mxn_16_kernelILj66ELj11ELj6E21rocsparse_complex_numIdEEEvi20rocsparse_direction_NS_24const_host_device_scalarIT2_EEPKiS8_PKS5_iiSA_S6_PS5_21rocsparse_index_base_b: ; @_ZN9rocsparseL22gebsrmvn_mxn_16_kernelILj66ELj11ELj6E21rocsparse_complex_numIdEEEvi20rocsparse_direction_NS_24const_host_device_scalarIT2_EEPKiS8_PKS5_iiSA_S6_PS5_21rocsparse_index_base_b
; %bb.0:
	s_load_dwordx2 s[0:1], s[4:5], 0x8
	s_load_dwordx2 s[2:3], s[4:5], 0x40
	;; [unrolled: 1-line block ×3, first 2 shown]
	s_add_u32 s7, s4, 8
	s_addc_u32 s8, s5, 0
	s_add_u32 s9, s4, 64
	s_addc_u32 s12, s5, 0
	s_waitcnt lgkmcnt(0)
	s_bitcmp1_b32 s11, 0
	s_cselect_b32 s1, s8, s1
	s_cselect_b32 s0, s7, s0
	v_mov_b32_e32 v1, s0
	v_mov_b32_e32 v2, s1
	flat_load_dwordx4 v[5:8], v[1:2]
	s_cselect_b32 s0, s12, s3
	s_cselect_b32 s1, s9, s2
	v_mov_b32_e32 v1, s1
	v_mov_b32_e32 v2, s0
	flat_load_dwordx4 v[1:4], v[1:2]
	s_waitcnt vmcnt(0) lgkmcnt(0)
	v_cmp_eq_f64_e32 vcc, 0, v[5:6]
	v_cmp_eq_f64_e64 s[0:1], 0, v[7:8]
	s_and_b64 s[8:9], vcc, s[0:1]
	s_mov_b64 s[0:1], -1
	s_and_saveexec_b64 s[2:3], s[8:9]
	s_cbranch_execz .LBB125_2
; %bb.1:
	v_cmp_neq_f64_e32 vcc, 1.0, v[1:2]
	v_cmp_neq_f64_e64 s[0:1], 0, v[3:4]
	s_or_b64 s[0:1], vcc, s[0:1]
	s_orn2_b64 s[0:1], s[0:1], exec
.LBB125_2:
	s_or_b64 exec, exec, s[2:3]
	s_and_saveexec_b64 s[2:3], s[0:1]
	s_cbranch_execz .LBB125_35
; %bb.3:
	s_load_dwordx2 s[0:1], s[4:5], 0x18
	s_load_dword s2, s[4:5], 0x4
	v_mul_u32_u24_e32 v10, 0x2aab, v0
	v_mov_b32_e32 v9, 6
	v_mul_lo_u16_sdwa v10, v10, v9 dst_sel:DWORD dst_unused:UNUSED_PAD src0_sel:WORD_1 src1_sel:DWORD
	v_sub_u16_e32 v18, v0, v10
	s_waitcnt lgkmcnt(0)
	s_cmp_lg_u32 s2, 1
	s_cselect_b64 s[12:13], -1, 0
	s_and_b64 vcc, exec, s[12:13]
	v_mov_b32_e32 v13, v18
	s_cbranch_vccnz .LBB125_5
; %bb.4:
	s_movk_i32 s2, 0x1746
	v_mul_u32_u24_sdwa v10, v0, s2 dst_sel:DWORD dst_unused:UNUSED_PAD src0_sel:WORD_0 src1_sel:DWORD
	v_mov_b32_e32 v11, 43
	v_mul_lo_u16_sdwa v11, v10, v11 dst_sel:DWORD dst_unused:UNUSED_PAD src0_sel:WORD_1 src1_sel:DWORD
	v_mul_lo_u16_sdwa v9, v11, v9 dst_sel:DWORD dst_unused:UNUSED_PAD src0_sel:BYTE_1 src1_sel:DWORD
	v_sub_u16_sdwa v9, v10, v9 dst_sel:DWORD dst_unused:UNUSED_PAD src0_sel:WORD_1 src1_sel:DWORD
	v_and_b32_e32 v13, 0xff, v9
.LBB125_5:
	s_ashr_i32 s7, s6, 31
	s_lshl_b64 s[2:3], s[6:7], 2
	s_add_u32 s0, s0, s2
	s_addc_u32 s1, s1, s3
	s_load_dwordx2 s[16:17], s[0:1], 0x0
	s_load_dwordx2 s[8:9], s[4:5], 0x50
	v_mov_b32_e32 v11, 0
	v_mov_b32_e32 v9, 0
	;; [unrolled: 1-line block ×3, first 2 shown]
	s_waitcnt lgkmcnt(0)
	s_cmp_ge_i32 s16, s17
	v_mov_b32_e32 v10, 0
	s_cbranch_scc1 .LBB125_10
; %bb.6:
	s_load_dwordx4 s[0:3], s[4:5], 0x20
	s_load_dwordx2 s[14:15], s[4:5], 0x38
	s_movk_i32 s4, 0x3e1
	v_mul_u32_u24_sdwa v19, v0, s4 dst_sel:DWORD dst_unused:UNUSED_PAD src0_sel:WORD_0 src1_sel:DWORD
	s_mul_i32 s4, s16, 0x42
	v_add_u32_e32 v9, s4, v0
	s_mul_i32 s4, s10, 0x42
	v_mov_b32_e32 v11, 0
	v_subrev_u32_e32 v14, s4, v9
	v_mov_b32_e32 v12, 0
	v_mov_b32_e32 v9, v11
	s_sub_i32 s7, s17, s10
	s_sub_i32 s11, s16, s10
	v_mov_b32_e32 v15, 0
	v_mov_b32_e32 v10, v12
	s_branch .LBB125_8
.LBB125_7:                              ;   in Loop: Header=BB125_8 Depth=1
	s_or_b64 exec, exec, s[4:5]
	s_add_i32 s11, s11, 1
	s_cmp_ge_i32 s11, s7
	v_add_u32_e32 v14, 0x42, v14
	s_cbranch_scc1 .LBB125_10
.LBB125_8:                              ; =>This Inner Loop Header: Depth=1
	v_add_u32_sdwa v16, v19, s11 dst_sel:DWORD dst_unused:UNUSED_PAD src0_sel:WORD_1 src1_sel:DWORD
	v_cmp_gt_i32_e32 vcc, s7, v16
	s_and_saveexec_b64 s[4:5], vcc
	s_cbranch_execz .LBB125_7
; %bb.9:                                ;   in Loop: Header=BB125_8 Depth=1
	v_ashrrev_i32_e32 v17, 31, v16
	v_lshlrev_b64 v[16:17], 2, v[16:17]
	s_waitcnt lgkmcnt(0)
	v_mov_b32_e32 v20, s1
	v_add_co_u32_e32 v16, vcc, s0, v16
	v_addc_co_u32_e32 v17, vcc, v20, v17, vcc
	global_load_dword v20, v[16:17], off
	v_lshlrev_b64 v[16:17], 4, v[14:15]
	v_mov_b32_e32 v21, s3
	v_add_co_u32_e32 v16, vcc, s2, v16
	v_addc_co_u32_e32 v17, vcc, v21, v17, vcc
	v_mov_b32_e32 v26, s15
	s_waitcnt vmcnt(0)
	v_subrev_u32_e32 v20, s10, v20
	v_mad_u64_u32 v[24:25], s[16:17], v20, 6, v[13:14]
	global_load_dwordx4 v[20:23], v[16:17], off
	v_ashrrev_i32_e32 v25, 31, v24
	v_lshlrev_b64 v[16:17], 4, v[24:25]
	v_add_co_u32_e32 v16, vcc, s14, v16
	v_addc_co_u32_e32 v17, vcc, v26, v17, vcc
	global_load_dwordx4 v[24:27], v[16:17], off
	s_waitcnt vmcnt(0)
	v_fma_f64 v[9:10], v[20:21], v[24:25], v[9:10]
	v_fma_f64 v[11:12], v[22:23], v[24:25], v[11:12]
	v_fma_f64 v[9:10], -v[22:23], v[26:27], v[9:10]
	v_fma_f64 v[11:12], v[20:21], v[26:27], v[11:12]
	s_branch .LBB125_7
.LBB125_10:
	v_lshlrev_b32_e32 v17, 4, v0
	s_and_b64 vcc, exec, s[12:13]
	ds_write_b128 v17, v[9:12]
	s_waitcnt lgkmcnt(0)
	s_barrier
	s_cbranch_vccz .LBB125_20
; %bb.11:
	v_cmp_gt_u16_e32 vcc, 2, v18
	s_and_saveexec_b64 s[0:1], vcc
	s_cbranch_execz .LBB125_13
; %bb.12:
	ds_read_b128 v[13:16], v17 offset:64
	ds_read_b128 v[19:22], v17
	s_waitcnt lgkmcnt(0)
	v_add_f64 v[13:14], v[13:14], v[19:20]
	v_add_f64 v[15:16], v[15:16], v[21:22]
	ds_write_b128 v17, v[13:16]
.LBB125_13:
	s_or_b64 exec, exec, s[0:1]
	s_waitcnt lgkmcnt(0)
	s_barrier
	s_and_saveexec_b64 s[0:1], vcc
	s_cbranch_execz .LBB125_15
; %bb.14:
	ds_read_b128 v[13:16], v17
	ds_read_b128 v[19:22], v17 offset:32
	s_waitcnt lgkmcnt(0)
	v_add_f64 v[13:14], v[19:20], v[13:14]
	v_add_f64 v[15:16], v[21:22], v[15:16]
	ds_write_b128 v17, v[13:16]
.LBB125_15:
	s_or_b64 exec, exec, s[0:1]
	v_cmp_eq_u16_e32 vcc, 0, v18
	s_waitcnt lgkmcnt(0)
	s_barrier
	s_and_saveexec_b64 s[0:1], vcc
	s_cbranch_execz .LBB125_17
; %bb.16:
	ds_read_b128 v[13:16], v17
	ds_read_b128 v[18:21], v17 offset:16
	s_waitcnt lgkmcnt(0)
	v_add_f64 v[13:14], v[18:19], v[13:14]
	v_add_f64 v[15:16], v[20:21], v[15:16]
	ds_write_b128 v17, v[13:16]
.LBB125_17:
	s_or_b64 exec, exec, s[0:1]
	v_mov_b32_e32 v16, v12
	v_mov_b32_e32 v14, v10
	v_cmp_gt_u32_e32 vcc, 11, v0
	v_mov_b32_e32 v15, v11
	v_mov_b32_e32 v13, v9
	s_waitcnt lgkmcnt(0)
	s_barrier
	s_and_saveexec_b64 s[0:1], vcc
; %bb.18:
	s_movk_i32 s2, 0x50
	v_mad_u32_u24 v13, v0, s2, v17
	ds_read_b128 v[13:16], v13
; %bb.19:
	s_or_b64 exec, exec, s[0:1]
	s_branch .LBB125_30
.LBB125_20:
                                        ; implicit-def: $vgpr15_vgpr16
	s_cbranch_execz .LBB125_30
; %bb.21:
	v_cmp_gt_u32_e32 vcc, 22, v0
	s_and_saveexec_b64 s[0:1], vcc
	s_cbranch_execz .LBB125_23
; %bb.22:
	s_waitcnt lgkmcnt(0)
	ds_read_b128 v[13:16], v17 offset:704
	ds_read_b128 v[18:21], v17
	s_waitcnt lgkmcnt(0)
	v_add_f64 v[13:14], v[13:14], v[18:19]
	v_add_f64 v[15:16], v[15:16], v[20:21]
	ds_write_b128 v17, v[13:16]
.LBB125_23:
	s_or_b64 exec, exec, s[0:1]
	s_waitcnt lgkmcnt(0)
	s_barrier
	s_and_saveexec_b64 s[0:1], vcc
	s_cbranch_execz .LBB125_25
; %bb.24:
	ds_read_b128 v[13:16], v17 offset:352
	ds_read_b128 v[18:21], v17
	s_waitcnt lgkmcnt(0)
	v_add_f64 v[13:14], v[13:14], v[18:19]
	v_add_f64 v[15:16], v[15:16], v[20:21]
	ds_write_b128 v17, v[13:16]
.LBB125_25:
	s_or_b64 exec, exec, s[0:1]
	v_cmp_lt_u32_e32 vcc, 10, v0
	s_waitcnt lgkmcnt(0)
	s_and_saveexec_b64 s[0:1], vcc
	s_xor_b64 s[0:1], exec, s[0:1]
; %bb.26:
                                        ; implicit-def: $vgpr17
; %bb.27:
	s_andn2_saveexec_b64 s[0:1], s[0:1]
	s_cbranch_execz .LBB125_29
; %bb.28:
	ds_read_b128 v[9:12], v17 offset:176
	ds_read_b128 v[13:16], v17
	s_waitcnt lgkmcnt(0)
	v_add_f64 v[9:10], v[9:10], v[13:14]
	v_add_f64 v[11:12], v[11:12], v[15:16]
	ds_write_b128 v17, v[9:12]
	s_waitcnt lgkmcnt(0)
	ds_read_b128 v[9:12], v17
.LBB125_29:
	s_or_b64 exec, exec, s[0:1]
	s_waitcnt lgkmcnt(0)
	v_mov_b32_e32 v16, v12
	v_mov_b32_e32 v14, v10
	;; [unrolled: 1-line block ×4, first 2 shown]
.LBB125_30:
	v_cmp_gt_u32_e32 vcc, 11, v0
	s_and_b64 exec, exec, vcc
	s_cbranch_execz .LBB125_35
; %bb.31:
	s_waitcnt lgkmcnt(0)
	v_mul_f64 v[9:10], v[15:16], -v[7:8]
	v_mul_f64 v[11:12], v[5:6], v[15:16]
	v_cmp_eq_f64_e32 vcc, 0, v[1:2]
	v_cmp_eq_f64_e64 s[0:1], 0, v[3:4]
	v_fma_f64 v[5:6], v[5:6], v[13:14], v[9:10]
	v_fma_f64 v[7:8], v[7:8], v[13:14], v[11:12]
	s_and_b64 s[0:1], vcc, s[0:1]
	s_and_saveexec_b64 s[2:3], s[0:1]
	s_xor_b64 s[0:1], exec, s[2:3]
	s_cbranch_execz .LBB125_33
; %bb.32:
	v_mad_u64_u32 v[0:1], s[2:3], s6, 11, v[0:1]
	v_mov_b32_e32 v1, 0
	v_mov_b32_e32 v2, s9
	v_lshlrev_b64 v[0:1], 4, v[0:1]
	v_add_co_u32_e32 v0, vcc, s8, v0
	v_addc_co_u32_e32 v1, vcc, v2, v1, vcc
	global_store_dwordx4 v[0:1], v[5:8], off
                                        ; implicit-def: $vgpr0
                                        ; implicit-def: $vgpr1_vgpr2
                                        ; implicit-def: $vgpr5_vgpr6
.LBB125_33:
	s_andn2_saveexec_b64 s[0:1], s[0:1]
	s_cbranch_execz .LBB125_35
; %bb.34:
	v_mad_u64_u32 v[9:10], s[0:1], s6, 11, v[0:1]
	v_mov_b32_e32 v10, 0
	v_mov_b32_e32 v0, s9
	v_lshlrev_b64 v[9:10], 4, v[9:10]
	v_add_co_u32_e32 v13, vcc, s8, v9
	v_addc_co_u32_e32 v14, vcc, v0, v10, vcc
	global_load_dwordx4 v[9:12], v[13:14], off
	s_waitcnt vmcnt(0)
	v_fma_f64 v[5:6], v[1:2], v[9:10], v[5:6]
	v_fma_f64 v[7:8], v[3:4], v[9:10], v[7:8]
	v_fma_f64 v[3:4], -v[3:4], v[11:12], v[5:6]
	v_fma_f64 v[5:6], v[1:2], v[11:12], v[7:8]
	global_store_dwordx4 v[13:14], v[3:6], off
.LBB125_35:
	s_endpgm
	.section	.rodata,"a",@progbits
	.p2align	6, 0x0
	.amdhsa_kernel _ZN9rocsparseL22gebsrmvn_mxn_16_kernelILj66ELj11ELj6E21rocsparse_complex_numIdEEEvi20rocsparse_direction_NS_24const_host_device_scalarIT2_EEPKiS8_PKS5_iiSA_S6_PS5_21rocsparse_index_base_b
		.amdhsa_group_segment_fixed_size 1056
		.amdhsa_private_segment_fixed_size 0
		.amdhsa_kernarg_size 96
		.amdhsa_user_sgpr_count 6
		.amdhsa_user_sgpr_private_segment_buffer 1
		.amdhsa_user_sgpr_dispatch_ptr 0
		.amdhsa_user_sgpr_queue_ptr 0
		.amdhsa_user_sgpr_kernarg_segment_ptr 1
		.amdhsa_user_sgpr_dispatch_id 0
		.amdhsa_user_sgpr_flat_scratch_init 0
		.amdhsa_user_sgpr_private_segment_size 0
		.amdhsa_uses_dynamic_stack 0
		.amdhsa_system_sgpr_private_segment_wavefront_offset 0
		.amdhsa_system_sgpr_workgroup_id_x 1
		.amdhsa_system_sgpr_workgroup_id_y 0
		.amdhsa_system_sgpr_workgroup_id_z 0
		.amdhsa_system_sgpr_workgroup_info 0
		.amdhsa_system_vgpr_workitem_id 0
		.amdhsa_next_free_vgpr 28
		.amdhsa_next_free_sgpr 18
		.amdhsa_reserve_vcc 1
		.amdhsa_reserve_flat_scratch 0
		.amdhsa_float_round_mode_32 0
		.amdhsa_float_round_mode_16_64 0
		.amdhsa_float_denorm_mode_32 3
		.amdhsa_float_denorm_mode_16_64 3
		.amdhsa_dx10_clamp 1
		.amdhsa_ieee_mode 1
		.amdhsa_fp16_overflow 0
		.amdhsa_exception_fp_ieee_invalid_op 0
		.amdhsa_exception_fp_denorm_src 0
		.amdhsa_exception_fp_ieee_div_zero 0
		.amdhsa_exception_fp_ieee_overflow 0
		.amdhsa_exception_fp_ieee_underflow 0
		.amdhsa_exception_fp_ieee_inexact 0
		.amdhsa_exception_int_div_zero 0
	.end_amdhsa_kernel
	.section	.text._ZN9rocsparseL22gebsrmvn_mxn_16_kernelILj66ELj11ELj6E21rocsparse_complex_numIdEEEvi20rocsparse_direction_NS_24const_host_device_scalarIT2_EEPKiS8_PKS5_iiSA_S6_PS5_21rocsparse_index_base_b,"axG",@progbits,_ZN9rocsparseL22gebsrmvn_mxn_16_kernelILj66ELj11ELj6E21rocsparse_complex_numIdEEEvi20rocsparse_direction_NS_24const_host_device_scalarIT2_EEPKiS8_PKS5_iiSA_S6_PS5_21rocsparse_index_base_b,comdat
.Lfunc_end125:
	.size	_ZN9rocsparseL22gebsrmvn_mxn_16_kernelILj66ELj11ELj6E21rocsparse_complex_numIdEEEvi20rocsparse_direction_NS_24const_host_device_scalarIT2_EEPKiS8_PKS5_iiSA_S6_PS5_21rocsparse_index_base_b, .Lfunc_end125-_ZN9rocsparseL22gebsrmvn_mxn_16_kernelILj66ELj11ELj6E21rocsparse_complex_numIdEEEvi20rocsparse_direction_NS_24const_host_device_scalarIT2_EEPKiS8_PKS5_iiSA_S6_PS5_21rocsparse_index_base_b
                                        ; -- End function
	.set _ZN9rocsparseL22gebsrmvn_mxn_16_kernelILj66ELj11ELj6E21rocsparse_complex_numIdEEEvi20rocsparse_direction_NS_24const_host_device_scalarIT2_EEPKiS8_PKS5_iiSA_S6_PS5_21rocsparse_index_base_b.num_vgpr, 28
	.set _ZN9rocsparseL22gebsrmvn_mxn_16_kernelILj66ELj11ELj6E21rocsparse_complex_numIdEEEvi20rocsparse_direction_NS_24const_host_device_scalarIT2_EEPKiS8_PKS5_iiSA_S6_PS5_21rocsparse_index_base_b.num_agpr, 0
	.set _ZN9rocsparseL22gebsrmvn_mxn_16_kernelILj66ELj11ELj6E21rocsparse_complex_numIdEEEvi20rocsparse_direction_NS_24const_host_device_scalarIT2_EEPKiS8_PKS5_iiSA_S6_PS5_21rocsparse_index_base_b.numbered_sgpr, 18
	.set _ZN9rocsparseL22gebsrmvn_mxn_16_kernelILj66ELj11ELj6E21rocsparse_complex_numIdEEEvi20rocsparse_direction_NS_24const_host_device_scalarIT2_EEPKiS8_PKS5_iiSA_S6_PS5_21rocsparse_index_base_b.num_named_barrier, 0
	.set _ZN9rocsparseL22gebsrmvn_mxn_16_kernelILj66ELj11ELj6E21rocsparse_complex_numIdEEEvi20rocsparse_direction_NS_24const_host_device_scalarIT2_EEPKiS8_PKS5_iiSA_S6_PS5_21rocsparse_index_base_b.private_seg_size, 0
	.set _ZN9rocsparseL22gebsrmvn_mxn_16_kernelILj66ELj11ELj6E21rocsparse_complex_numIdEEEvi20rocsparse_direction_NS_24const_host_device_scalarIT2_EEPKiS8_PKS5_iiSA_S6_PS5_21rocsparse_index_base_b.uses_vcc, 1
	.set _ZN9rocsparseL22gebsrmvn_mxn_16_kernelILj66ELj11ELj6E21rocsparse_complex_numIdEEEvi20rocsparse_direction_NS_24const_host_device_scalarIT2_EEPKiS8_PKS5_iiSA_S6_PS5_21rocsparse_index_base_b.uses_flat_scratch, 0
	.set _ZN9rocsparseL22gebsrmvn_mxn_16_kernelILj66ELj11ELj6E21rocsparse_complex_numIdEEEvi20rocsparse_direction_NS_24const_host_device_scalarIT2_EEPKiS8_PKS5_iiSA_S6_PS5_21rocsparse_index_base_b.has_dyn_sized_stack, 0
	.set _ZN9rocsparseL22gebsrmvn_mxn_16_kernelILj66ELj11ELj6E21rocsparse_complex_numIdEEEvi20rocsparse_direction_NS_24const_host_device_scalarIT2_EEPKiS8_PKS5_iiSA_S6_PS5_21rocsparse_index_base_b.has_recursion, 0
	.set _ZN9rocsparseL22gebsrmvn_mxn_16_kernelILj66ELj11ELj6E21rocsparse_complex_numIdEEEvi20rocsparse_direction_NS_24const_host_device_scalarIT2_EEPKiS8_PKS5_iiSA_S6_PS5_21rocsparse_index_base_b.has_indirect_call, 0
	.section	.AMDGPU.csdata,"",@progbits
; Kernel info:
; codeLenInByte = 1340
; TotalNumSgprs: 22
; NumVgprs: 28
; ScratchSize: 0
; MemoryBound: 0
; FloatMode: 240
; IeeeMode: 1
; LDSByteSize: 1056 bytes/workgroup (compile time only)
; SGPRBlocks: 2
; VGPRBlocks: 6
; NumSGPRsForWavesPerEU: 22
; NumVGPRsForWavesPerEU: 28
; Occupancy: 9
; WaveLimiterHint : 1
; COMPUTE_PGM_RSRC2:SCRATCH_EN: 0
; COMPUTE_PGM_RSRC2:USER_SGPR: 6
; COMPUTE_PGM_RSRC2:TRAP_HANDLER: 0
; COMPUTE_PGM_RSRC2:TGID_X_EN: 1
; COMPUTE_PGM_RSRC2:TGID_Y_EN: 0
; COMPUTE_PGM_RSRC2:TGID_Z_EN: 0
; COMPUTE_PGM_RSRC2:TIDIG_COMP_CNT: 0
	.section	.text._ZN9rocsparseL22gebsrmvn_mxn_16_kernelILj77ELj11ELj7E21rocsparse_complex_numIdEEEvi20rocsparse_direction_NS_24const_host_device_scalarIT2_EEPKiS8_PKS5_iiSA_S6_PS5_21rocsparse_index_base_b,"axG",@progbits,_ZN9rocsparseL22gebsrmvn_mxn_16_kernelILj77ELj11ELj7E21rocsparse_complex_numIdEEEvi20rocsparse_direction_NS_24const_host_device_scalarIT2_EEPKiS8_PKS5_iiSA_S6_PS5_21rocsparse_index_base_b,comdat
	.globl	_ZN9rocsparseL22gebsrmvn_mxn_16_kernelILj77ELj11ELj7E21rocsparse_complex_numIdEEEvi20rocsparse_direction_NS_24const_host_device_scalarIT2_EEPKiS8_PKS5_iiSA_S6_PS5_21rocsparse_index_base_b ; -- Begin function _ZN9rocsparseL22gebsrmvn_mxn_16_kernelILj77ELj11ELj7E21rocsparse_complex_numIdEEEvi20rocsparse_direction_NS_24const_host_device_scalarIT2_EEPKiS8_PKS5_iiSA_S6_PS5_21rocsparse_index_base_b
	.p2align	8
	.type	_ZN9rocsparseL22gebsrmvn_mxn_16_kernelILj77ELj11ELj7E21rocsparse_complex_numIdEEEvi20rocsparse_direction_NS_24const_host_device_scalarIT2_EEPKiS8_PKS5_iiSA_S6_PS5_21rocsparse_index_base_b,@function
_ZN9rocsparseL22gebsrmvn_mxn_16_kernelILj77ELj11ELj7E21rocsparse_complex_numIdEEEvi20rocsparse_direction_NS_24const_host_device_scalarIT2_EEPKiS8_PKS5_iiSA_S6_PS5_21rocsparse_index_base_b: ; @_ZN9rocsparseL22gebsrmvn_mxn_16_kernelILj77ELj11ELj7E21rocsparse_complex_numIdEEEvi20rocsparse_direction_NS_24const_host_device_scalarIT2_EEPKiS8_PKS5_iiSA_S6_PS5_21rocsparse_index_base_b
; %bb.0:
	s_load_dwordx2 s[0:1], s[4:5], 0x8
	s_load_dwordx2 s[2:3], s[4:5], 0x40
	;; [unrolled: 1-line block ×3, first 2 shown]
	s_add_u32 s7, s4, 8
	s_addc_u32 s8, s5, 0
	s_add_u32 s9, s4, 64
	s_addc_u32 s12, s5, 0
	s_waitcnt lgkmcnt(0)
	s_bitcmp1_b32 s11, 0
	s_cselect_b32 s1, s8, s1
	s_cselect_b32 s0, s7, s0
	v_mov_b32_e32 v1, s0
	v_mov_b32_e32 v2, s1
	flat_load_dwordx4 v[5:8], v[1:2]
	s_cselect_b32 s0, s12, s3
	s_cselect_b32 s1, s9, s2
	v_mov_b32_e32 v1, s1
	v_mov_b32_e32 v2, s0
	flat_load_dwordx4 v[1:4], v[1:2]
	s_waitcnt vmcnt(0) lgkmcnt(0)
	v_cmp_eq_f64_e32 vcc, 0, v[5:6]
	v_cmp_eq_f64_e64 s[0:1], 0, v[7:8]
	s_and_b64 s[8:9], vcc, s[0:1]
	s_mov_b64 s[0:1], -1
	s_and_saveexec_b64 s[2:3], s[8:9]
	s_cbranch_execz .LBB126_2
; %bb.1:
	v_cmp_neq_f64_e32 vcc, 1.0, v[1:2]
	v_cmp_neq_f64_e64 s[0:1], 0, v[3:4]
	s_or_b64 s[0:1], vcc, s[0:1]
	s_orn2_b64 s[0:1], s[0:1], exec
.LBB126_2:
	s_or_b64 exec, exec, s[2:3]
	s_and_saveexec_b64 s[2:3], s[0:1]
	s_cbranch_execz .LBB126_35
; %bb.3:
	s_load_dwordx2 s[0:1], s[4:5], 0x18
	s_load_dword s2, s[4:5], 0x4
	v_mul_u32_u24_e32 v10, 0x2493, v0
	v_mov_b32_e32 v9, 7
	v_mul_lo_u16_sdwa v10, v10, v9 dst_sel:DWORD dst_unused:UNUSED_PAD src0_sel:WORD_1 src1_sel:DWORD
	v_sub_u16_e32 v18, v0, v10
	s_waitcnt lgkmcnt(0)
	s_cmp_lg_u32 s2, 1
	s_cselect_b64 s[12:13], -1, 0
	s_and_b64 vcc, exec, s[12:13]
	v_mov_b32_e32 v13, v18
	s_cbranch_vccnz .LBB126_5
; %bb.4:
	s_movk_i32 s2, 0x1746
	v_mul_u32_u24_sdwa v10, v0, s2 dst_sel:DWORD dst_unused:UNUSED_PAD src0_sel:WORD_0 src1_sel:DWORD
	v_mov_b32_e32 v11, 37
	v_mul_lo_u16_sdwa v11, v10, v11 dst_sel:DWORD dst_unused:UNUSED_PAD src0_sel:WORD_1 src1_sel:DWORD
	v_mul_lo_u16_sdwa v9, v11, v9 dst_sel:DWORD dst_unused:UNUSED_PAD src0_sel:BYTE_1 src1_sel:DWORD
	v_sub_u16_sdwa v9, v10, v9 dst_sel:DWORD dst_unused:UNUSED_PAD src0_sel:WORD_1 src1_sel:DWORD
	v_and_b32_e32 v13, 0xff, v9
.LBB126_5:
	s_ashr_i32 s7, s6, 31
	s_lshl_b64 s[2:3], s[6:7], 2
	s_add_u32 s0, s0, s2
	s_addc_u32 s1, s1, s3
	s_load_dwordx2 s[16:17], s[0:1], 0x0
	s_load_dwordx2 s[8:9], s[4:5], 0x50
	v_mov_b32_e32 v11, 0
	v_mov_b32_e32 v9, 0
	;; [unrolled: 1-line block ×3, first 2 shown]
	s_waitcnt lgkmcnt(0)
	s_cmp_ge_i32 s16, s17
	v_mov_b32_e32 v10, 0
	s_cbranch_scc1 .LBB126_10
; %bb.6:
	s_load_dwordx4 s[0:3], s[4:5], 0x20
	s_load_dwordx2 s[14:15], s[4:5], 0x38
	s_movk_i32 s4, 0x354
	v_mul_u32_u24_sdwa v19, v0, s4 dst_sel:DWORD dst_unused:UNUSED_PAD src0_sel:WORD_0 src1_sel:DWORD
	s_mul_i32 s4, s16, 0x4d
	v_add_u32_e32 v9, s4, v0
	s_mul_i32 s4, s10, 0x4d
	v_mov_b32_e32 v11, 0
	v_subrev_u32_e32 v14, s4, v9
	v_mov_b32_e32 v12, 0
	v_mov_b32_e32 v9, v11
	s_sub_i32 s7, s17, s10
	s_sub_i32 s11, s16, s10
	v_mov_b32_e32 v15, 0
	v_mov_b32_e32 v10, v12
	s_branch .LBB126_8
.LBB126_7:                              ;   in Loop: Header=BB126_8 Depth=1
	s_or_b64 exec, exec, s[4:5]
	s_add_i32 s11, s11, 1
	s_cmp_ge_i32 s11, s7
	v_add_u32_e32 v14, 0x4d, v14
	s_cbranch_scc1 .LBB126_10
.LBB126_8:                              ; =>This Inner Loop Header: Depth=1
	v_add_u32_sdwa v16, v19, s11 dst_sel:DWORD dst_unused:UNUSED_PAD src0_sel:WORD_1 src1_sel:DWORD
	v_cmp_gt_i32_e32 vcc, s7, v16
	s_and_saveexec_b64 s[4:5], vcc
	s_cbranch_execz .LBB126_7
; %bb.9:                                ;   in Loop: Header=BB126_8 Depth=1
	v_ashrrev_i32_e32 v17, 31, v16
	v_lshlrev_b64 v[16:17], 2, v[16:17]
	s_waitcnt lgkmcnt(0)
	v_mov_b32_e32 v20, s1
	v_add_co_u32_e32 v16, vcc, s0, v16
	v_addc_co_u32_e32 v17, vcc, v20, v17, vcc
	global_load_dword v20, v[16:17], off
	v_lshlrev_b64 v[16:17], 4, v[14:15]
	v_mov_b32_e32 v21, s3
	v_add_co_u32_e32 v16, vcc, s2, v16
	v_addc_co_u32_e32 v17, vcc, v21, v17, vcc
	v_mov_b32_e32 v26, s15
	s_waitcnt vmcnt(0)
	v_subrev_u32_e32 v20, s10, v20
	v_mad_u64_u32 v[24:25], s[16:17], v20, 7, v[13:14]
	global_load_dwordx4 v[20:23], v[16:17], off
	v_ashrrev_i32_e32 v25, 31, v24
	v_lshlrev_b64 v[16:17], 4, v[24:25]
	v_add_co_u32_e32 v16, vcc, s14, v16
	v_addc_co_u32_e32 v17, vcc, v26, v17, vcc
	global_load_dwordx4 v[24:27], v[16:17], off
	s_waitcnt vmcnt(0)
	v_fma_f64 v[9:10], v[20:21], v[24:25], v[9:10]
	v_fma_f64 v[11:12], v[22:23], v[24:25], v[11:12]
	v_fma_f64 v[9:10], -v[22:23], v[26:27], v[9:10]
	v_fma_f64 v[11:12], v[20:21], v[26:27], v[11:12]
	s_branch .LBB126_7
.LBB126_10:
	v_lshlrev_b32_e32 v17, 4, v0
	s_and_b64 vcc, exec, s[12:13]
	ds_write_b128 v17, v[9:12]
	s_waitcnt lgkmcnt(0)
	s_barrier
	s_cbranch_vccz .LBB126_20
; %bb.11:
	v_cmp_gt_u16_e32 vcc, 3, v18
	s_and_saveexec_b64 s[0:1], vcc
	s_cbranch_execz .LBB126_13
; %bb.12:
	ds_read_b128 v[13:16], v17 offset:64
	ds_read_b128 v[19:22], v17
	s_waitcnt lgkmcnt(0)
	v_add_f64 v[13:14], v[13:14], v[19:20]
	v_add_f64 v[15:16], v[15:16], v[21:22]
	ds_write_b128 v17, v[13:16]
.LBB126_13:
	s_or_b64 exec, exec, s[0:1]
	v_cmp_gt_u16_e32 vcc, 2, v18
	s_waitcnt lgkmcnt(0)
	s_barrier
	s_and_saveexec_b64 s[0:1], vcc
	s_cbranch_execz .LBB126_15
; %bb.14:
	ds_read_b128 v[13:16], v17
	ds_read_b128 v[19:22], v17 offset:32
	s_waitcnt lgkmcnt(0)
	v_add_f64 v[13:14], v[19:20], v[13:14]
	v_add_f64 v[15:16], v[21:22], v[15:16]
	ds_write_b128 v17, v[13:16]
.LBB126_15:
	s_or_b64 exec, exec, s[0:1]
	v_cmp_eq_u16_e32 vcc, 0, v18
	s_waitcnt lgkmcnt(0)
	s_barrier
	s_and_saveexec_b64 s[0:1], vcc
	s_cbranch_execz .LBB126_17
; %bb.16:
	ds_read_b128 v[13:16], v17
	ds_read_b128 v[18:21], v17 offset:16
	s_waitcnt lgkmcnt(0)
	v_add_f64 v[13:14], v[18:19], v[13:14]
	v_add_f64 v[15:16], v[20:21], v[15:16]
	ds_write_b128 v17, v[13:16]
.LBB126_17:
	s_or_b64 exec, exec, s[0:1]
	v_mov_b32_e32 v16, v12
	v_mov_b32_e32 v14, v10
	v_cmp_gt_u32_e32 vcc, 11, v0
	v_mov_b32_e32 v15, v11
	v_mov_b32_e32 v13, v9
	s_waitcnt lgkmcnt(0)
	s_barrier
	s_and_saveexec_b64 s[0:1], vcc
; %bb.18:
	s_movk_i32 s2, 0x60
	v_mad_u32_u24 v13, v0, s2, v17
	ds_read_b128 v[13:16], v13
; %bb.19:
	s_or_b64 exec, exec, s[0:1]
	s_branch .LBB126_30
.LBB126_20:
                                        ; implicit-def: $vgpr15_vgpr16
	s_cbranch_execz .LBB126_30
; %bb.21:
	v_cmp_gt_u32_e32 vcc, 33, v0
	s_and_saveexec_b64 s[0:1], vcc
	s_cbranch_execz .LBB126_23
; %bb.22:
	s_waitcnt lgkmcnt(0)
	ds_read_b128 v[13:16], v17 offset:704
	ds_read_b128 v[18:21], v17
	s_waitcnt lgkmcnt(0)
	v_add_f64 v[13:14], v[13:14], v[18:19]
	v_add_f64 v[15:16], v[15:16], v[20:21]
	ds_write_b128 v17, v[13:16]
.LBB126_23:
	s_or_b64 exec, exec, s[0:1]
	v_cmp_gt_u32_e32 vcc, 22, v0
	s_waitcnt lgkmcnt(0)
	s_barrier
	s_and_saveexec_b64 s[0:1], vcc
	s_cbranch_execz .LBB126_25
; %bb.24:
	ds_read_b128 v[13:16], v17 offset:352
	ds_read_b128 v[18:21], v17
	s_waitcnt lgkmcnt(0)
	v_add_f64 v[13:14], v[13:14], v[18:19]
	v_add_f64 v[15:16], v[15:16], v[20:21]
	ds_write_b128 v17, v[13:16]
.LBB126_25:
	s_or_b64 exec, exec, s[0:1]
	v_cmp_lt_u32_e32 vcc, 10, v0
	s_waitcnt lgkmcnt(0)
	s_and_saveexec_b64 s[0:1], vcc
	s_xor_b64 s[0:1], exec, s[0:1]
; %bb.26:
                                        ; implicit-def: $vgpr17
; %bb.27:
	s_andn2_saveexec_b64 s[0:1], s[0:1]
	s_cbranch_execz .LBB126_29
; %bb.28:
	ds_read_b128 v[9:12], v17 offset:176
	ds_read_b128 v[13:16], v17
	s_waitcnt lgkmcnt(0)
	v_add_f64 v[9:10], v[9:10], v[13:14]
	v_add_f64 v[11:12], v[11:12], v[15:16]
	ds_write_b128 v17, v[9:12]
	s_waitcnt lgkmcnt(0)
	ds_read_b128 v[9:12], v17
.LBB126_29:
	s_or_b64 exec, exec, s[0:1]
	s_waitcnt lgkmcnt(0)
	v_mov_b32_e32 v16, v12
	v_mov_b32_e32 v14, v10
	;; [unrolled: 1-line block ×4, first 2 shown]
.LBB126_30:
	v_cmp_gt_u32_e32 vcc, 11, v0
	s_and_b64 exec, exec, vcc
	s_cbranch_execz .LBB126_35
; %bb.31:
	s_waitcnt lgkmcnt(0)
	v_mul_f64 v[9:10], v[15:16], -v[7:8]
	v_mul_f64 v[11:12], v[5:6], v[15:16]
	v_cmp_eq_f64_e32 vcc, 0, v[1:2]
	v_cmp_eq_f64_e64 s[0:1], 0, v[3:4]
	v_fma_f64 v[5:6], v[5:6], v[13:14], v[9:10]
	v_fma_f64 v[7:8], v[7:8], v[13:14], v[11:12]
	s_and_b64 s[0:1], vcc, s[0:1]
	s_and_saveexec_b64 s[2:3], s[0:1]
	s_xor_b64 s[0:1], exec, s[2:3]
	s_cbranch_execz .LBB126_33
; %bb.32:
	v_mad_u64_u32 v[0:1], s[2:3], s6, 11, v[0:1]
	v_mov_b32_e32 v1, 0
	v_mov_b32_e32 v2, s9
	v_lshlrev_b64 v[0:1], 4, v[0:1]
	v_add_co_u32_e32 v0, vcc, s8, v0
	v_addc_co_u32_e32 v1, vcc, v2, v1, vcc
	global_store_dwordx4 v[0:1], v[5:8], off
                                        ; implicit-def: $vgpr0
                                        ; implicit-def: $vgpr1_vgpr2
                                        ; implicit-def: $vgpr5_vgpr6
.LBB126_33:
	s_andn2_saveexec_b64 s[0:1], s[0:1]
	s_cbranch_execz .LBB126_35
; %bb.34:
	v_mad_u64_u32 v[9:10], s[0:1], s6, 11, v[0:1]
	v_mov_b32_e32 v10, 0
	v_mov_b32_e32 v0, s9
	v_lshlrev_b64 v[9:10], 4, v[9:10]
	v_add_co_u32_e32 v13, vcc, s8, v9
	v_addc_co_u32_e32 v14, vcc, v0, v10, vcc
	global_load_dwordx4 v[9:12], v[13:14], off
	s_waitcnt vmcnt(0)
	v_fma_f64 v[5:6], v[1:2], v[9:10], v[5:6]
	v_fma_f64 v[7:8], v[3:4], v[9:10], v[7:8]
	v_fma_f64 v[3:4], -v[3:4], v[11:12], v[5:6]
	v_fma_f64 v[5:6], v[1:2], v[11:12], v[7:8]
	global_store_dwordx4 v[13:14], v[3:6], off
.LBB126_35:
	s_endpgm
	.section	.rodata,"a",@progbits
	.p2align	6, 0x0
	.amdhsa_kernel _ZN9rocsparseL22gebsrmvn_mxn_16_kernelILj77ELj11ELj7E21rocsparse_complex_numIdEEEvi20rocsparse_direction_NS_24const_host_device_scalarIT2_EEPKiS8_PKS5_iiSA_S6_PS5_21rocsparse_index_base_b
		.amdhsa_group_segment_fixed_size 1232
		.amdhsa_private_segment_fixed_size 0
		.amdhsa_kernarg_size 96
		.amdhsa_user_sgpr_count 6
		.amdhsa_user_sgpr_private_segment_buffer 1
		.amdhsa_user_sgpr_dispatch_ptr 0
		.amdhsa_user_sgpr_queue_ptr 0
		.amdhsa_user_sgpr_kernarg_segment_ptr 1
		.amdhsa_user_sgpr_dispatch_id 0
		.amdhsa_user_sgpr_flat_scratch_init 0
		.amdhsa_user_sgpr_private_segment_size 0
		.amdhsa_uses_dynamic_stack 0
		.amdhsa_system_sgpr_private_segment_wavefront_offset 0
		.amdhsa_system_sgpr_workgroup_id_x 1
		.amdhsa_system_sgpr_workgroup_id_y 0
		.amdhsa_system_sgpr_workgroup_id_z 0
		.amdhsa_system_sgpr_workgroup_info 0
		.amdhsa_system_vgpr_workitem_id 0
		.amdhsa_next_free_vgpr 28
		.amdhsa_next_free_sgpr 18
		.amdhsa_reserve_vcc 1
		.amdhsa_reserve_flat_scratch 0
		.amdhsa_float_round_mode_32 0
		.amdhsa_float_round_mode_16_64 0
		.amdhsa_float_denorm_mode_32 3
		.amdhsa_float_denorm_mode_16_64 3
		.amdhsa_dx10_clamp 1
		.amdhsa_ieee_mode 1
		.amdhsa_fp16_overflow 0
		.amdhsa_exception_fp_ieee_invalid_op 0
		.amdhsa_exception_fp_denorm_src 0
		.amdhsa_exception_fp_ieee_div_zero 0
		.amdhsa_exception_fp_ieee_overflow 0
		.amdhsa_exception_fp_ieee_underflow 0
		.amdhsa_exception_fp_ieee_inexact 0
		.amdhsa_exception_int_div_zero 0
	.end_amdhsa_kernel
	.section	.text._ZN9rocsparseL22gebsrmvn_mxn_16_kernelILj77ELj11ELj7E21rocsparse_complex_numIdEEEvi20rocsparse_direction_NS_24const_host_device_scalarIT2_EEPKiS8_PKS5_iiSA_S6_PS5_21rocsparse_index_base_b,"axG",@progbits,_ZN9rocsparseL22gebsrmvn_mxn_16_kernelILj77ELj11ELj7E21rocsparse_complex_numIdEEEvi20rocsparse_direction_NS_24const_host_device_scalarIT2_EEPKiS8_PKS5_iiSA_S6_PS5_21rocsparse_index_base_b,comdat
.Lfunc_end126:
	.size	_ZN9rocsparseL22gebsrmvn_mxn_16_kernelILj77ELj11ELj7E21rocsparse_complex_numIdEEEvi20rocsparse_direction_NS_24const_host_device_scalarIT2_EEPKiS8_PKS5_iiSA_S6_PS5_21rocsparse_index_base_b, .Lfunc_end126-_ZN9rocsparseL22gebsrmvn_mxn_16_kernelILj77ELj11ELj7E21rocsparse_complex_numIdEEEvi20rocsparse_direction_NS_24const_host_device_scalarIT2_EEPKiS8_PKS5_iiSA_S6_PS5_21rocsparse_index_base_b
                                        ; -- End function
	.set _ZN9rocsparseL22gebsrmvn_mxn_16_kernelILj77ELj11ELj7E21rocsparse_complex_numIdEEEvi20rocsparse_direction_NS_24const_host_device_scalarIT2_EEPKiS8_PKS5_iiSA_S6_PS5_21rocsparse_index_base_b.num_vgpr, 28
	.set _ZN9rocsparseL22gebsrmvn_mxn_16_kernelILj77ELj11ELj7E21rocsparse_complex_numIdEEEvi20rocsparse_direction_NS_24const_host_device_scalarIT2_EEPKiS8_PKS5_iiSA_S6_PS5_21rocsparse_index_base_b.num_agpr, 0
	.set _ZN9rocsparseL22gebsrmvn_mxn_16_kernelILj77ELj11ELj7E21rocsparse_complex_numIdEEEvi20rocsparse_direction_NS_24const_host_device_scalarIT2_EEPKiS8_PKS5_iiSA_S6_PS5_21rocsparse_index_base_b.numbered_sgpr, 18
	.set _ZN9rocsparseL22gebsrmvn_mxn_16_kernelILj77ELj11ELj7E21rocsparse_complex_numIdEEEvi20rocsparse_direction_NS_24const_host_device_scalarIT2_EEPKiS8_PKS5_iiSA_S6_PS5_21rocsparse_index_base_b.num_named_barrier, 0
	.set _ZN9rocsparseL22gebsrmvn_mxn_16_kernelILj77ELj11ELj7E21rocsparse_complex_numIdEEEvi20rocsparse_direction_NS_24const_host_device_scalarIT2_EEPKiS8_PKS5_iiSA_S6_PS5_21rocsparse_index_base_b.private_seg_size, 0
	.set _ZN9rocsparseL22gebsrmvn_mxn_16_kernelILj77ELj11ELj7E21rocsparse_complex_numIdEEEvi20rocsparse_direction_NS_24const_host_device_scalarIT2_EEPKiS8_PKS5_iiSA_S6_PS5_21rocsparse_index_base_b.uses_vcc, 1
	.set _ZN9rocsparseL22gebsrmvn_mxn_16_kernelILj77ELj11ELj7E21rocsparse_complex_numIdEEEvi20rocsparse_direction_NS_24const_host_device_scalarIT2_EEPKiS8_PKS5_iiSA_S6_PS5_21rocsparse_index_base_b.uses_flat_scratch, 0
	.set _ZN9rocsparseL22gebsrmvn_mxn_16_kernelILj77ELj11ELj7E21rocsparse_complex_numIdEEEvi20rocsparse_direction_NS_24const_host_device_scalarIT2_EEPKiS8_PKS5_iiSA_S6_PS5_21rocsparse_index_base_b.has_dyn_sized_stack, 0
	.set _ZN9rocsparseL22gebsrmvn_mxn_16_kernelILj77ELj11ELj7E21rocsparse_complex_numIdEEEvi20rocsparse_direction_NS_24const_host_device_scalarIT2_EEPKiS8_PKS5_iiSA_S6_PS5_21rocsparse_index_base_b.has_recursion, 0
	.set _ZN9rocsparseL22gebsrmvn_mxn_16_kernelILj77ELj11ELj7E21rocsparse_complex_numIdEEEvi20rocsparse_direction_NS_24const_host_device_scalarIT2_EEPKiS8_PKS5_iiSA_S6_PS5_21rocsparse_index_base_b.has_indirect_call, 0
	.section	.AMDGPU.csdata,"",@progbits
; Kernel info:
; codeLenInByte = 1348
; TotalNumSgprs: 22
; NumVgprs: 28
; ScratchSize: 0
; MemoryBound: 0
; FloatMode: 240
; IeeeMode: 1
; LDSByteSize: 1232 bytes/workgroup (compile time only)
; SGPRBlocks: 2
; VGPRBlocks: 6
; NumSGPRsForWavesPerEU: 22
; NumVGPRsForWavesPerEU: 28
; Occupancy: 9
; WaveLimiterHint : 1
; COMPUTE_PGM_RSRC2:SCRATCH_EN: 0
; COMPUTE_PGM_RSRC2:USER_SGPR: 6
; COMPUTE_PGM_RSRC2:TRAP_HANDLER: 0
; COMPUTE_PGM_RSRC2:TGID_X_EN: 1
; COMPUTE_PGM_RSRC2:TGID_Y_EN: 0
; COMPUTE_PGM_RSRC2:TGID_Z_EN: 0
; COMPUTE_PGM_RSRC2:TIDIG_COMP_CNT: 0
	.section	.text._ZN9rocsparseL22gebsrmvn_mxn_16_kernelILj88ELj11ELj8E21rocsparse_complex_numIdEEEvi20rocsparse_direction_NS_24const_host_device_scalarIT2_EEPKiS8_PKS5_iiSA_S6_PS5_21rocsparse_index_base_b,"axG",@progbits,_ZN9rocsparseL22gebsrmvn_mxn_16_kernelILj88ELj11ELj8E21rocsparse_complex_numIdEEEvi20rocsparse_direction_NS_24const_host_device_scalarIT2_EEPKiS8_PKS5_iiSA_S6_PS5_21rocsparse_index_base_b,comdat
	.globl	_ZN9rocsparseL22gebsrmvn_mxn_16_kernelILj88ELj11ELj8E21rocsparse_complex_numIdEEEvi20rocsparse_direction_NS_24const_host_device_scalarIT2_EEPKiS8_PKS5_iiSA_S6_PS5_21rocsparse_index_base_b ; -- Begin function _ZN9rocsparseL22gebsrmvn_mxn_16_kernelILj88ELj11ELj8E21rocsparse_complex_numIdEEEvi20rocsparse_direction_NS_24const_host_device_scalarIT2_EEPKiS8_PKS5_iiSA_S6_PS5_21rocsparse_index_base_b
	.p2align	8
	.type	_ZN9rocsparseL22gebsrmvn_mxn_16_kernelILj88ELj11ELj8E21rocsparse_complex_numIdEEEvi20rocsparse_direction_NS_24const_host_device_scalarIT2_EEPKiS8_PKS5_iiSA_S6_PS5_21rocsparse_index_base_b,@function
_ZN9rocsparseL22gebsrmvn_mxn_16_kernelILj88ELj11ELj8E21rocsparse_complex_numIdEEEvi20rocsparse_direction_NS_24const_host_device_scalarIT2_EEPKiS8_PKS5_iiSA_S6_PS5_21rocsparse_index_base_b: ; @_ZN9rocsparseL22gebsrmvn_mxn_16_kernelILj88ELj11ELj8E21rocsparse_complex_numIdEEEvi20rocsparse_direction_NS_24const_host_device_scalarIT2_EEPKiS8_PKS5_iiSA_S6_PS5_21rocsparse_index_base_b
; %bb.0:
	s_load_dwordx2 s[0:1], s[4:5], 0x8
	s_load_dwordx2 s[2:3], s[4:5], 0x40
	s_load_dwordx2 s[10:11], s[4:5], 0x58
	s_add_u32 s7, s4, 8
	s_addc_u32 s8, s5, 0
	s_add_u32 s9, s4, 64
	s_addc_u32 s12, s5, 0
	s_waitcnt lgkmcnt(0)
	s_bitcmp1_b32 s11, 0
	s_cselect_b32 s1, s8, s1
	s_cselect_b32 s0, s7, s0
	v_mov_b32_e32 v1, s0
	v_mov_b32_e32 v2, s1
	flat_load_dwordx4 v[5:8], v[1:2]
	s_cselect_b32 s0, s12, s3
	s_cselect_b32 s1, s9, s2
	v_mov_b32_e32 v1, s1
	v_mov_b32_e32 v2, s0
	flat_load_dwordx4 v[1:4], v[1:2]
	s_waitcnt vmcnt(0) lgkmcnt(0)
	v_cmp_eq_f64_e32 vcc, 0, v[5:6]
	v_cmp_eq_f64_e64 s[0:1], 0, v[7:8]
	s_and_b64 s[8:9], vcc, s[0:1]
	s_mov_b64 s[0:1], -1
	s_and_saveexec_b64 s[2:3], s[8:9]
	s_cbranch_execz .LBB127_2
; %bb.1:
	v_cmp_neq_f64_e32 vcc, 1.0, v[1:2]
	v_cmp_neq_f64_e64 s[0:1], 0, v[3:4]
	s_or_b64 s[0:1], vcc, s[0:1]
	s_orn2_b64 s[0:1], s[0:1], exec
.LBB127_2:
	s_or_b64 exec, exec, s[2:3]
	s_and_saveexec_b64 s[2:3], s[0:1]
	s_cbranch_execz .LBB127_35
; %bb.3:
	s_load_dword s2, s[4:5], 0x4
	s_load_dwordx2 s[0:1], s[4:5], 0x18
	v_and_b32_e32 v18, 7, v0
	v_mov_b32_e32 v17, v18
	s_waitcnt lgkmcnt(0)
	s_cmp_lg_u32 s2, 1
	s_cselect_b64 s[12:13], -1, 0
	s_and_b64 vcc, exec, s[12:13]
	s_cbranch_vccnz .LBB127_5
; %bb.4:
	v_mul_u32_u24_e32 v9, 0x1746, v0
	v_bfe_u32 v17, v9, 16, 3
.LBB127_5:
	s_ashr_i32 s7, s6, 31
	s_lshl_b64 s[2:3], s[6:7], 2
	s_add_u32 s0, s0, s2
	s_addc_u32 s1, s1, s3
	s_load_dwordx2 s[16:17], s[0:1], 0x0
	s_load_dwordx2 s[8:9], s[4:5], 0x50
	v_mov_b32_e32 v11, 0
	v_mov_b32_e32 v9, 0
	;; [unrolled: 1-line block ×3, first 2 shown]
	s_waitcnt lgkmcnt(0)
	s_cmp_ge_i32 s16, s17
	v_mov_b32_e32 v10, 0
	s_cbranch_scc1 .LBB127_10
; %bb.6:
	s_load_dwordx4 s[0:3], s[4:5], 0x20
	s_load_dwordx2 s[14:15], s[4:5], 0x38
	s_mul_i32 s4, s16, 0x58
	v_add_u32_e32 v9, s4, v0
	s_mul_i32 s4, s10, 0x58
	v_mov_b32_e32 v11, 0
	v_subrev_u32_e32 v13, s4, v9
	v_mov_b32_e32 v12, 0
	v_mov_b32_e32 v9, v11
	s_sub_i32 s7, s17, s10
	s_sub_i32 s11, s16, s10
	v_mul_u32_u24_e32 v19, 0x2e9, v0
	v_mov_b32_e32 v14, 0
	v_mov_b32_e32 v10, v12
	s_branch .LBB127_8
.LBB127_7:                              ;   in Loop: Header=BB127_8 Depth=1
	s_or_b64 exec, exec, s[4:5]
	s_add_i32 s11, s11, 1
	s_cmp_ge_i32 s11, s7
	v_add_u32_e32 v13, 0x58, v13
	s_cbranch_scc1 .LBB127_10
.LBB127_8:                              ; =>This Inner Loop Header: Depth=1
	v_add_u32_sdwa v15, v19, s11 dst_sel:DWORD dst_unused:UNUSED_PAD src0_sel:WORD_1 src1_sel:DWORD
	v_cmp_gt_i32_e32 vcc, s7, v15
	s_and_saveexec_b64 s[4:5], vcc
	s_cbranch_execz .LBB127_7
; %bb.9:                                ;   in Loop: Header=BB127_8 Depth=1
	v_ashrrev_i32_e32 v16, 31, v15
	v_lshlrev_b64 v[15:16], 2, v[15:16]
	s_waitcnt lgkmcnt(0)
	v_mov_b32_e32 v20, s1
	v_add_co_u32_e32 v15, vcc, s0, v15
	v_addc_co_u32_e32 v16, vcc, v20, v16, vcc
	global_load_dword v24, v[15:16], off
	v_lshlrev_b64 v[15:16], 4, v[13:14]
	v_mov_b32_e32 v20, s3
	v_add_co_u32_e32 v15, vcc, s2, v15
	v_addc_co_u32_e32 v16, vcc, v20, v16, vcc
	global_load_dwordx4 v[20:23], v[15:16], off
	v_mov_b32_e32 v25, s15
	s_waitcnt vmcnt(1)
	v_subrev_u32_e32 v15, s10, v24
	v_lshl_or_b32 v15, v15, 3, v17
	v_ashrrev_i32_e32 v16, 31, v15
	v_lshlrev_b64 v[15:16], 4, v[15:16]
	v_add_co_u32_e32 v15, vcc, s14, v15
	v_addc_co_u32_e32 v16, vcc, v25, v16, vcc
	global_load_dwordx4 v[24:27], v[15:16], off
	s_waitcnt vmcnt(0)
	v_fma_f64 v[9:10], v[20:21], v[24:25], v[9:10]
	v_fma_f64 v[11:12], v[22:23], v[24:25], v[11:12]
	v_fma_f64 v[9:10], -v[22:23], v[26:27], v[9:10]
	v_fma_f64 v[11:12], v[20:21], v[26:27], v[11:12]
	s_branch .LBB127_7
.LBB127_10:
	v_lshlrev_b32_e32 v17, 4, v0
	s_and_b64 vcc, exec, s[12:13]
	ds_write_b128 v17, v[9:12]
	s_waitcnt lgkmcnt(0)
	s_barrier
	s_cbranch_vccz .LBB127_20
; %bb.11:
	v_cmp_gt_u32_e32 vcc, 4, v18
	s_and_saveexec_b64 s[0:1], vcc
	s_cbranch_execz .LBB127_13
; %bb.12:
	ds_read_b128 v[13:16], v17 offset:64
	ds_read_b128 v[19:22], v17
	s_waitcnt lgkmcnt(0)
	v_add_f64 v[13:14], v[13:14], v[19:20]
	v_add_f64 v[15:16], v[15:16], v[21:22]
	ds_write_b128 v17, v[13:16]
.LBB127_13:
	s_or_b64 exec, exec, s[0:1]
	v_cmp_gt_u32_e32 vcc, 2, v18
	s_waitcnt lgkmcnt(0)
	s_barrier
	s_and_saveexec_b64 s[0:1], vcc
	s_cbranch_execz .LBB127_15
; %bb.14:
	ds_read_b128 v[13:16], v17
	ds_read_b128 v[19:22], v17 offset:32
	s_waitcnt lgkmcnt(0)
	v_add_f64 v[13:14], v[19:20], v[13:14]
	v_add_f64 v[15:16], v[21:22], v[15:16]
	ds_write_b128 v17, v[13:16]
.LBB127_15:
	s_or_b64 exec, exec, s[0:1]
	v_cmp_eq_u32_e32 vcc, 0, v18
	s_waitcnt lgkmcnt(0)
	s_barrier
	s_and_saveexec_b64 s[0:1], vcc
	s_cbranch_execz .LBB127_17
; %bb.16:
	ds_read_b128 v[13:16], v17
	ds_read_b128 v[18:21], v17 offset:16
	s_waitcnt lgkmcnt(0)
	v_add_f64 v[13:14], v[18:19], v[13:14]
	v_add_f64 v[15:16], v[20:21], v[15:16]
	ds_write_b128 v17, v[13:16]
.LBB127_17:
	s_or_b64 exec, exec, s[0:1]
	v_mov_b32_e32 v16, v12
	v_mov_b32_e32 v14, v10
	v_cmp_gt_u32_e32 vcc, 11, v0
	v_mov_b32_e32 v15, v11
	v_mov_b32_e32 v13, v9
	s_waitcnt lgkmcnt(0)
	s_barrier
	s_and_saveexec_b64 s[0:1], vcc
; %bb.18:
	s_movk_i32 s2, 0x70
	v_mad_u32_u24 v13, v0, s2, v17
	ds_read_b128 v[13:16], v13
; %bb.19:
	s_or_b64 exec, exec, s[0:1]
	s_branch .LBB127_30
.LBB127_20:
                                        ; implicit-def: $vgpr15_vgpr16
	s_cbranch_execz .LBB127_30
; %bb.21:
	v_cmp_gt_u32_e32 vcc, 44, v0
	s_and_saveexec_b64 s[0:1], vcc
	s_cbranch_execz .LBB127_23
; %bb.22:
	s_waitcnt lgkmcnt(0)
	ds_read_b128 v[13:16], v17 offset:704
	ds_read_b128 v[18:21], v17
	s_waitcnt lgkmcnt(0)
	v_add_f64 v[13:14], v[13:14], v[18:19]
	v_add_f64 v[15:16], v[15:16], v[20:21]
	ds_write_b128 v17, v[13:16]
.LBB127_23:
	s_or_b64 exec, exec, s[0:1]
	v_cmp_gt_u32_e32 vcc, 22, v0
	s_waitcnt lgkmcnt(0)
	s_barrier
	s_and_saveexec_b64 s[0:1], vcc
	s_cbranch_execz .LBB127_25
; %bb.24:
	ds_read_b128 v[13:16], v17 offset:352
	ds_read_b128 v[18:21], v17
	s_waitcnt lgkmcnt(0)
	v_add_f64 v[13:14], v[13:14], v[18:19]
	v_add_f64 v[15:16], v[15:16], v[20:21]
	ds_write_b128 v17, v[13:16]
.LBB127_25:
	s_or_b64 exec, exec, s[0:1]
	v_cmp_lt_u32_e32 vcc, 10, v0
	s_waitcnt lgkmcnt(0)
	s_and_saveexec_b64 s[0:1], vcc
	s_xor_b64 s[0:1], exec, s[0:1]
; %bb.26:
                                        ; implicit-def: $vgpr17
; %bb.27:
	s_andn2_saveexec_b64 s[0:1], s[0:1]
	s_cbranch_execz .LBB127_29
; %bb.28:
	ds_read_b128 v[9:12], v17 offset:176
	ds_read_b128 v[13:16], v17
	s_waitcnt lgkmcnt(0)
	v_add_f64 v[9:10], v[9:10], v[13:14]
	v_add_f64 v[11:12], v[11:12], v[15:16]
	ds_write_b128 v17, v[9:12]
	s_waitcnt lgkmcnt(0)
	ds_read_b128 v[9:12], v17
.LBB127_29:
	s_or_b64 exec, exec, s[0:1]
	s_waitcnt lgkmcnt(0)
	v_mov_b32_e32 v16, v12
	v_mov_b32_e32 v14, v10
	;; [unrolled: 1-line block ×4, first 2 shown]
.LBB127_30:
	v_cmp_gt_u32_e32 vcc, 11, v0
	s_and_b64 exec, exec, vcc
	s_cbranch_execz .LBB127_35
; %bb.31:
	s_waitcnt lgkmcnt(0)
	v_mul_f64 v[9:10], v[15:16], -v[7:8]
	v_mul_f64 v[11:12], v[5:6], v[15:16]
	v_cmp_eq_f64_e32 vcc, 0, v[1:2]
	v_cmp_eq_f64_e64 s[0:1], 0, v[3:4]
	v_fma_f64 v[5:6], v[5:6], v[13:14], v[9:10]
	v_fma_f64 v[7:8], v[7:8], v[13:14], v[11:12]
	s_and_b64 s[0:1], vcc, s[0:1]
	s_and_saveexec_b64 s[2:3], s[0:1]
	s_xor_b64 s[0:1], exec, s[2:3]
	s_cbranch_execz .LBB127_33
; %bb.32:
	v_mad_u64_u32 v[0:1], s[2:3], s6, 11, v[0:1]
	v_mov_b32_e32 v1, 0
	v_mov_b32_e32 v2, s9
	v_lshlrev_b64 v[0:1], 4, v[0:1]
	v_add_co_u32_e32 v0, vcc, s8, v0
	v_addc_co_u32_e32 v1, vcc, v2, v1, vcc
	global_store_dwordx4 v[0:1], v[5:8], off
                                        ; implicit-def: $vgpr0
                                        ; implicit-def: $vgpr1_vgpr2
                                        ; implicit-def: $vgpr5_vgpr6
.LBB127_33:
	s_andn2_saveexec_b64 s[0:1], s[0:1]
	s_cbranch_execz .LBB127_35
; %bb.34:
	v_mad_u64_u32 v[9:10], s[0:1], s6, 11, v[0:1]
	v_mov_b32_e32 v10, 0
	v_mov_b32_e32 v0, s9
	v_lshlrev_b64 v[9:10], 4, v[9:10]
	v_add_co_u32_e32 v13, vcc, s8, v9
	v_addc_co_u32_e32 v14, vcc, v0, v10, vcc
	global_load_dwordx4 v[9:12], v[13:14], off
	s_waitcnt vmcnt(0)
	v_fma_f64 v[5:6], v[1:2], v[9:10], v[5:6]
	v_fma_f64 v[7:8], v[3:4], v[9:10], v[7:8]
	v_fma_f64 v[3:4], -v[3:4], v[11:12], v[5:6]
	v_fma_f64 v[5:6], v[1:2], v[11:12], v[7:8]
	global_store_dwordx4 v[13:14], v[3:6], off
.LBB127_35:
	s_endpgm
	.section	.rodata,"a",@progbits
	.p2align	6, 0x0
	.amdhsa_kernel _ZN9rocsparseL22gebsrmvn_mxn_16_kernelILj88ELj11ELj8E21rocsparse_complex_numIdEEEvi20rocsparse_direction_NS_24const_host_device_scalarIT2_EEPKiS8_PKS5_iiSA_S6_PS5_21rocsparse_index_base_b
		.amdhsa_group_segment_fixed_size 1408
		.amdhsa_private_segment_fixed_size 0
		.amdhsa_kernarg_size 96
		.amdhsa_user_sgpr_count 6
		.amdhsa_user_sgpr_private_segment_buffer 1
		.amdhsa_user_sgpr_dispatch_ptr 0
		.amdhsa_user_sgpr_queue_ptr 0
		.amdhsa_user_sgpr_kernarg_segment_ptr 1
		.amdhsa_user_sgpr_dispatch_id 0
		.amdhsa_user_sgpr_flat_scratch_init 0
		.amdhsa_user_sgpr_private_segment_size 0
		.amdhsa_uses_dynamic_stack 0
		.amdhsa_system_sgpr_private_segment_wavefront_offset 0
		.amdhsa_system_sgpr_workgroup_id_x 1
		.amdhsa_system_sgpr_workgroup_id_y 0
		.amdhsa_system_sgpr_workgroup_id_z 0
		.amdhsa_system_sgpr_workgroup_info 0
		.amdhsa_system_vgpr_workitem_id 0
		.amdhsa_next_free_vgpr 28
		.amdhsa_next_free_sgpr 18
		.amdhsa_reserve_vcc 1
		.amdhsa_reserve_flat_scratch 0
		.amdhsa_float_round_mode_32 0
		.amdhsa_float_round_mode_16_64 0
		.amdhsa_float_denorm_mode_32 3
		.amdhsa_float_denorm_mode_16_64 3
		.amdhsa_dx10_clamp 1
		.amdhsa_ieee_mode 1
		.amdhsa_fp16_overflow 0
		.amdhsa_exception_fp_ieee_invalid_op 0
		.amdhsa_exception_fp_denorm_src 0
		.amdhsa_exception_fp_ieee_div_zero 0
		.amdhsa_exception_fp_ieee_overflow 0
		.amdhsa_exception_fp_ieee_underflow 0
		.amdhsa_exception_fp_ieee_inexact 0
		.amdhsa_exception_int_div_zero 0
	.end_amdhsa_kernel
	.section	.text._ZN9rocsparseL22gebsrmvn_mxn_16_kernelILj88ELj11ELj8E21rocsparse_complex_numIdEEEvi20rocsparse_direction_NS_24const_host_device_scalarIT2_EEPKiS8_PKS5_iiSA_S6_PS5_21rocsparse_index_base_b,"axG",@progbits,_ZN9rocsparseL22gebsrmvn_mxn_16_kernelILj88ELj11ELj8E21rocsparse_complex_numIdEEEvi20rocsparse_direction_NS_24const_host_device_scalarIT2_EEPKiS8_PKS5_iiSA_S6_PS5_21rocsparse_index_base_b,comdat
.Lfunc_end127:
	.size	_ZN9rocsparseL22gebsrmvn_mxn_16_kernelILj88ELj11ELj8E21rocsparse_complex_numIdEEEvi20rocsparse_direction_NS_24const_host_device_scalarIT2_EEPKiS8_PKS5_iiSA_S6_PS5_21rocsparse_index_base_b, .Lfunc_end127-_ZN9rocsparseL22gebsrmvn_mxn_16_kernelILj88ELj11ELj8E21rocsparse_complex_numIdEEEvi20rocsparse_direction_NS_24const_host_device_scalarIT2_EEPKiS8_PKS5_iiSA_S6_PS5_21rocsparse_index_base_b
                                        ; -- End function
	.set _ZN9rocsparseL22gebsrmvn_mxn_16_kernelILj88ELj11ELj8E21rocsparse_complex_numIdEEEvi20rocsparse_direction_NS_24const_host_device_scalarIT2_EEPKiS8_PKS5_iiSA_S6_PS5_21rocsparse_index_base_b.num_vgpr, 28
	.set _ZN9rocsparseL22gebsrmvn_mxn_16_kernelILj88ELj11ELj8E21rocsparse_complex_numIdEEEvi20rocsparse_direction_NS_24const_host_device_scalarIT2_EEPKiS8_PKS5_iiSA_S6_PS5_21rocsparse_index_base_b.num_agpr, 0
	.set _ZN9rocsparseL22gebsrmvn_mxn_16_kernelILj88ELj11ELj8E21rocsparse_complex_numIdEEEvi20rocsparse_direction_NS_24const_host_device_scalarIT2_EEPKiS8_PKS5_iiSA_S6_PS5_21rocsparse_index_base_b.numbered_sgpr, 18
	.set _ZN9rocsparseL22gebsrmvn_mxn_16_kernelILj88ELj11ELj8E21rocsparse_complex_numIdEEEvi20rocsparse_direction_NS_24const_host_device_scalarIT2_EEPKiS8_PKS5_iiSA_S6_PS5_21rocsparse_index_base_b.num_named_barrier, 0
	.set _ZN9rocsparseL22gebsrmvn_mxn_16_kernelILj88ELj11ELj8E21rocsparse_complex_numIdEEEvi20rocsparse_direction_NS_24const_host_device_scalarIT2_EEPKiS8_PKS5_iiSA_S6_PS5_21rocsparse_index_base_b.private_seg_size, 0
	.set _ZN9rocsparseL22gebsrmvn_mxn_16_kernelILj88ELj11ELj8E21rocsparse_complex_numIdEEEvi20rocsparse_direction_NS_24const_host_device_scalarIT2_EEPKiS8_PKS5_iiSA_S6_PS5_21rocsparse_index_base_b.uses_vcc, 1
	.set _ZN9rocsparseL22gebsrmvn_mxn_16_kernelILj88ELj11ELj8E21rocsparse_complex_numIdEEEvi20rocsparse_direction_NS_24const_host_device_scalarIT2_EEPKiS8_PKS5_iiSA_S6_PS5_21rocsparse_index_base_b.uses_flat_scratch, 0
	.set _ZN9rocsparseL22gebsrmvn_mxn_16_kernelILj88ELj11ELj8E21rocsparse_complex_numIdEEEvi20rocsparse_direction_NS_24const_host_device_scalarIT2_EEPKiS8_PKS5_iiSA_S6_PS5_21rocsparse_index_base_b.has_dyn_sized_stack, 0
	.set _ZN9rocsparseL22gebsrmvn_mxn_16_kernelILj88ELj11ELj8E21rocsparse_complex_numIdEEEvi20rocsparse_direction_NS_24const_host_device_scalarIT2_EEPKiS8_PKS5_iiSA_S6_PS5_21rocsparse_index_base_b.has_recursion, 0
	.set _ZN9rocsparseL22gebsrmvn_mxn_16_kernelILj88ELj11ELj8E21rocsparse_complex_numIdEEEvi20rocsparse_direction_NS_24const_host_device_scalarIT2_EEPKiS8_PKS5_iiSA_S6_PS5_21rocsparse_index_base_b.has_indirect_call, 0
	.section	.AMDGPU.csdata,"",@progbits
; Kernel info:
; codeLenInByte = 1292
; TotalNumSgprs: 22
; NumVgprs: 28
; ScratchSize: 0
; MemoryBound: 0
; FloatMode: 240
; IeeeMode: 1
; LDSByteSize: 1408 bytes/workgroup (compile time only)
; SGPRBlocks: 2
; VGPRBlocks: 6
; NumSGPRsForWavesPerEU: 22
; NumVGPRsForWavesPerEU: 28
; Occupancy: 9
; WaveLimiterHint : 1
; COMPUTE_PGM_RSRC2:SCRATCH_EN: 0
; COMPUTE_PGM_RSRC2:USER_SGPR: 6
; COMPUTE_PGM_RSRC2:TRAP_HANDLER: 0
; COMPUTE_PGM_RSRC2:TGID_X_EN: 1
; COMPUTE_PGM_RSRC2:TGID_Y_EN: 0
; COMPUTE_PGM_RSRC2:TGID_Z_EN: 0
; COMPUTE_PGM_RSRC2:TIDIG_COMP_CNT: 0
	.section	.text._ZN9rocsparseL22gebsrmvn_mxn_16_kernelILj60ELj12ELj1E21rocsparse_complex_numIdEEEvi20rocsparse_direction_NS_24const_host_device_scalarIT2_EEPKiS8_PKS5_iiSA_S6_PS5_21rocsparse_index_base_b,"axG",@progbits,_ZN9rocsparseL22gebsrmvn_mxn_16_kernelILj60ELj12ELj1E21rocsparse_complex_numIdEEEvi20rocsparse_direction_NS_24const_host_device_scalarIT2_EEPKiS8_PKS5_iiSA_S6_PS5_21rocsparse_index_base_b,comdat
	.globl	_ZN9rocsparseL22gebsrmvn_mxn_16_kernelILj60ELj12ELj1E21rocsparse_complex_numIdEEEvi20rocsparse_direction_NS_24const_host_device_scalarIT2_EEPKiS8_PKS5_iiSA_S6_PS5_21rocsparse_index_base_b ; -- Begin function _ZN9rocsparseL22gebsrmvn_mxn_16_kernelILj60ELj12ELj1E21rocsparse_complex_numIdEEEvi20rocsparse_direction_NS_24const_host_device_scalarIT2_EEPKiS8_PKS5_iiSA_S6_PS5_21rocsparse_index_base_b
	.p2align	8
	.type	_ZN9rocsparseL22gebsrmvn_mxn_16_kernelILj60ELj12ELj1E21rocsparse_complex_numIdEEEvi20rocsparse_direction_NS_24const_host_device_scalarIT2_EEPKiS8_PKS5_iiSA_S6_PS5_21rocsparse_index_base_b,@function
_ZN9rocsparseL22gebsrmvn_mxn_16_kernelILj60ELj12ELj1E21rocsparse_complex_numIdEEEvi20rocsparse_direction_NS_24const_host_device_scalarIT2_EEPKiS8_PKS5_iiSA_S6_PS5_21rocsparse_index_base_b: ; @_ZN9rocsparseL22gebsrmvn_mxn_16_kernelILj60ELj12ELj1E21rocsparse_complex_numIdEEEvi20rocsparse_direction_NS_24const_host_device_scalarIT2_EEPKiS8_PKS5_iiSA_S6_PS5_21rocsparse_index_base_b
; %bb.0:
	s_load_dwordx2 s[0:1], s[4:5], 0x8
	s_load_dwordx2 s[2:3], s[4:5], 0x40
	;; [unrolled: 1-line block ×3, first 2 shown]
	s_add_u32 s7, s4, 8
	s_addc_u32 s8, s5, 0
	s_add_u32 s9, s4, 64
	s_addc_u32 s12, s5, 0
	s_waitcnt lgkmcnt(0)
	s_bitcmp1_b32 s11, 0
	s_cselect_b32 s1, s8, s1
	s_cselect_b32 s0, s7, s0
	v_mov_b32_e32 v1, s0
	v_mov_b32_e32 v2, s1
	flat_load_dwordx4 v[5:8], v[1:2]
	s_cselect_b32 s0, s12, s3
	s_cselect_b32 s1, s9, s2
	v_mov_b32_e32 v1, s1
	v_mov_b32_e32 v2, s0
	flat_load_dwordx4 v[1:4], v[1:2]
	s_waitcnt vmcnt(0) lgkmcnt(0)
	v_cmp_eq_f64_e32 vcc, 0, v[5:6]
	v_cmp_eq_f64_e64 s[0:1], 0, v[7:8]
	s_and_b64 s[8:9], vcc, s[0:1]
	s_mov_b64 s[0:1], -1
	s_and_saveexec_b64 s[2:3], s[8:9]
	s_cbranch_execz .LBB128_2
; %bb.1:
	v_cmp_neq_f64_e32 vcc, 1.0, v[1:2]
	v_cmp_neq_f64_e64 s[0:1], 0, v[3:4]
	s_or_b64 s[0:1], vcc, s[0:1]
	s_orn2_b64 s[0:1], s[0:1], exec
.LBB128_2:
	s_or_b64 exec, exec, s[2:3]
	s_and_saveexec_b64 s[2:3], s[0:1]
	s_cbranch_execz .LBB128_22
; %bb.3:
	s_load_dwordx2 s[0:1], s[4:5], 0x18
	s_ashr_i32 s7, s6, 31
	s_lshl_b64 s[2:3], s[6:7], 2
	s_waitcnt lgkmcnt(0)
	s_add_u32 s0, s0, s2
	s_addc_u32 s1, s1, s3
	s_load_dwordx2 s[14:15], s[0:1], 0x0
	s_waitcnt lgkmcnt(0)
	s_cmp_lt_i32 s14, s15
	s_cbranch_scc1 .LBB128_5
; %bb.4:
	s_mov_b64 s[0:1], 0
	s_branch .LBB128_6
.LBB128_5:
	s_mov_b64 s[0:1], -1
.LBB128_6:
	s_load_dwordx2 s[8:9], s[4:5], 0x50
	v_mov_b32_e32 v11, 0
	v_mov_b32_e32 v9, 0
	;; [unrolled: 1-line block ×3, first 2 shown]
	s_andn2_b64 vcc, exec, s[0:1]
	v_mov_b32_e32 v10, 0
	s_cbranch_vccnz .LBB128_11
; %bb.7:
	s_load_dwordx4 s[0:3], s[4:5], 0x20
	s_load_dwordx2 s[12:13], s[4:5], 0x38
	v_mad_u64_u32 v[9:10], s[4:5], s14, 12, v[0:1]
	s_mul_i32 s4, s10, 12
	v_mov_b32_e32 v11, 0
	v_subrev_u32_e32 v13, s4, v9
	v_mov_b32_e32 v12, 0
	v_mov_b32_e32 v9, v11
	s_sub_i32 s7, s15, s10
	s_sub_i32 s11, s14, s10
	v_mul_u32_u24_e32 v17, 0x1556, v0
	v_mov_b32_e32 v14, 0
	v_mov_b32_e32 v10, v12
	s_branch .LBB128_9
.LBB128_8:                              ;   in Loop: Header=BB128_9 Depth=1
	s_or_b64 exec, exec, s[4:5]
	s_add_i32 s11, s11, 5
	s_cmp_ge_i32 s11, s7
	v_add_u32_e32 v13, 60, v13
	s_cbranch_scc1 .LBB128_11
.LBB128_9:                              ; =>This Inner Loop Header: Depth=1
	v_add_u32_sdwa v15, v17, s11 dst_sel:DWORD dst_unused:UNUSED_PAD src0_sel:WORD_1 src1_sel:DWORD
	v_cmp_gt_i32_e32 vcc, s7, v15
	s_and_saveexec_b64 s[4:5], vcc
	s_cbranch_execz .LBB128_8
; %bb.10:                               ;   in Loop: Header=BB128_9 Depth=1
	v_ashrrev_i32_e32 v16, 31, v15
	v_lshlrev_b64 v[15:16], 2, v[15:16]
	s_waitcnt lgkmcnt(0)
	v_mov_b32_e32 v18, s1
	v_add_co_u32_e32 v15, vcc, s0, v15
	v_addc_co_u32_e32 v16, vcc, v18, v16, vcc
	global_load_dword v22, v[15:16], off
	v_lshlrev_b64 v[15:16], 4, v[13:14]
	v_mov_b32_e32 v18, s3
	v_add_co_u32_e32 v15, vcc, s2, v15
	v_addc_co_u32_e32 v16, vcc, v18, v16, vcc
	global_load_dwordx4 v[18:21], v[15:16], off
	v_mov_b32_e32 v23, s13
	s_waitcnt vmcnt(1)
	v_subrev_u32_e32 v15, s10, v22
	v_ashrrev_i32_e32 v16, 31, v15
	v_lshlrev_b64 v[15:16], 4, v[15:16]
	v_add_co_u32_e32 v15, vcc, s12, v15
	v_addc_co_u32_e32 v16, vcc, v23, v16, vcc
	global_load_dwordx4 v[22:25], v[15:16], off
	s_waitcnt vmcnt(0)
	v_fma_f64 v[9:10], v[18:19], v[22:23], v[9:10]
	v_fma_f64 v[11:12], v[20:21], v[22:23], v[11:12]
	v_fma_f64 v[9:10], -v[20:21], v[24:25], v[9:10]
	v_fma_f64 v[11:12], v[18:19], v[24:25], v[11:12]
	s_branch .LBB128_8
.LBB128_11:
	v_lshlrev_b32_e32 v13, 4, v0
	v_cmp_gt_u32_e32 vcc, 12, v0
	ds_write_b128 v13, v[9:12]
	s_waitcnt lgkmcnt(0)
	; wave barrier
	s_and_saveexec_b64 s[0:1], vcc
	s_cbranch_execz .LBB128_13
; %bb.12:
	ds_read_b128 v[9:12], v13 offset:768
	ds_read_b128 v[14:17], v13
	s_waitcnt lgkmcnt(0)
	v_add_f64 v[9:10], v[9:10], v[14:15]
	v_add_f64 v[11:12], v[11:12], v[16:17]
	ds_write_b128 v13, v[9:12]
.LBB128_13:
	s_or_b64 exec, exec, s[0:1]
	v_cmp_gt_u32_e64 s[0:1], 24, v0
	s_waitcnt lgkmcnt(0)
	; wave barrier
	s_and_saveexec_b64 s[2:3], s[0:1]
	s_cbranch_execz .LBB128_15
; %bb.14:
	ds_read_b128 v[9:12], v13 offset:384
	ds_read_b128 v[14:17], v13
	s_waitcnt lgkmcnt(0)
	v_add_f64 v[9:10], v[9:10], v[14:15]
	v_add_f64 v[11:12], v[11:12], v[16:17]
	ds_write_b128 v13, v[9:12]
.LBB128_15:
	s_or_b64 exec, exec, s[2:3]
	s_waitcnt lgkmcnt(0)
	; wave barrier
	s_and_saveexec_b64 s[0:1], vcc
	s_cbranch_execz .LBB128_17
; %bb.16:
	ds_read_b128 v[9:12], v13 offset:192
	ds_read_b128 v[14:17], v13
	s_waitcnt lgkmcnt(0)
	v_add_f64 v[9:10], v[9:10], v[14:15]
	v_add_f64 v[11:12], v[11:12], v[16:17]
	ds_write_b128 v13, v[9:12]
.LBB128_17:
	s_or_b64 exec, exec, s[0:1]
	s_waitcnt lgkmcnt(0)
	; wave barrier
	s_and_b64 exec, exec, vcc
	s_cbranch_execz .LBB128_22
; %bb.18:
	ds_read_b128 v[9:12], v13
	v_cmp_eq_f64_e32 vcc, 0, v[1:2]
	v_cmp_eq_f64_e64 s[0:1], 0, v[3:4]
	s_waitcnt lgkmcnt(0)
	v_mul_f64 v[13:14], v[11:12], -v[7:8]
	v_mul_f64 v[11:12], v[5:6], v[11:12]
	s_and_b64 s[0:1], vcc, s[0:1]
	v_fma_f64 v[5:6], v[5:6], v[9:10], v[13:14]
	v_fma_f64 v[7:8], v[7:8], v[9:10], v[11:12]
	s_and_saveexec_b64 s[2:3], s[0:1]
	s_xor_b64 s[0:1], exec, s[2:3]
	s_cbranch_execz .LBB128_20
; %bb.19:
	v_mad_u64_u32 v[0:1], s[2:3], s6, 12, v[0:1]
	v_mov_b32_e32 v1, 0
	v_mov_b32_e32 v2, s9
	v_lshlrev_b64 v[0:1], 4, v[0:1]
	v_add_co_u32_e32 v0, vcc, s8, v0
	v_addc_co_u32_e32 v1, vcc, v2, v1, vcc
	global_store_dwordx4 v[0:1], v[5:8], off
                                        ; implicit-def: $vgpr0
                                        ; implicit-def: $vgpr1_vgpr2
                                        ; implicit-def: $vgpr5_vgpr6
.LBB128_20:
	s_andn2_saveexec_b64 s[0:1], s[0:1]
	s_cbranch_execz .LBB128_22
; %bb.21:
	v_mad_u64_u32 v[9:10], s[0:1], s6, 12, v[0:1]
	v_mov_b32_e32 v10, 0
	v_mov_b32_e32 v0, s9
	v_lshlrev_b64 v[9:10], 4, v[9:10]
	v_add_co_u32_e32 v13, vcc, s8, v9
	v_addc_co_u32_e32 v14, vcc, v0, v10, vcc
	global_load_dwordx4 v[9:12], v[13:14], off
	s_waitcnt vmcnt(0)
	v_fma_f64 v[5:6], v[1:2], v[9:10], v[5:6]
	v_fma_f64 v[7:8], v[3:4], v[9:10], v[7:8]
	v_fma_f64 v[3:4], -v[3:4], v[11:12], v[5:6]
	v_fma_f64 v[5:6], v[1:2], v[11:12], v[7:8]
	global_store_dwordx4 v[13:14], v[3:6], off
.LBB128_22:
	s_endpgm
	.section	.rodata,"a",@progbits
	.p2align	6, 0x0
	.amdhsa_kernel _ZN9rocsparseL22gebsrmvn_mxn_16_kernelILj60ELj12ELj1E21rocsparse_complex_numIdEEEvi20rocsparse_direction_NS_24const_host_device_scalarIT2_EEPKiS8_PKS5_iiSA_S6_PS5_21rocsparse_index_base_b
		.amdhsa_group_segment_fixed_size 960
		.amdhsa_private_segment_fixed_size 0
		.amdhsa_kernarg_size 96
		.amdhsa_user_sgpr_count 6
		.amdhsa_user_sgpr_private_segment_buffer 1
		.amdhsa_user_sgpr_dispatch_ptr 0
		.amdhsa_user_sgpr_queue_ptr 0
		.amdhsa_user_sgpr_kernarg_segment_ptr 1
		.amdhsa_user_sgpr_dispatch_id 0
		.amdhsa_user_sgpr_flat_scratch_init 0
		.amdhsa_user_sgpr_private_segment_size 0
		.amdhsa_uses_dynamic_stack 0
		.amdhsa_system_sgpr_private_segment_wavefront_offset 0
		.amdhsa_system_sgpr_workgroup_id_x 1
		.amdhsa_system_sgpr_workgroup_id_y 0
		.amdhsa_system_sgpr_workgroup_id_z 0
		.amdhsa_system_sgpr_workgroup_info 0
		.amdhsa_system_vgpr_workitem_id 0
		.amdhsa_next_free_vgpr 26
		.amdhsa_next_free_sgpr 16
		.amdhsa_reserve_vcc 1
		.amdhsa_reserve_flat_scratch 0
		.amdhsa_float_round_mode_32 0
		.amdhsa_float_round_mode_16_64 0
		.amdhsa_float_denorm_mode_32 3
		.amdhsa_float_denorm_mode_16_64 3
		.amdhsa_dx10_clamp 1
		.amdhsa_ieee_mode 1
		.amdhsa_fp16_overflow 0
		.amdhsa_exception_fp_ieee_invalid_op 0
		.amdhsa_exception_fp_denorm_src 0
		.amdhsa_exception_fp_ieee_div_zero 0
		.amdhsa_exception_fp_ieee_overflow 0
		.amdhsa_exception_fp_ieee_underflow 0
		.amdhsa_exception_fp_ieee_inexact 0
		.amdhsa_exception_int_div_zero 0
	.end_amdhsa_kernel
	.section	.text._ZN9rocsparseL22gebsrmvn_mxn_16_kernelILj60ELj12ELj1E21rocsparse_complex_numIdEEEvi20rocsparse_direction_NS_24const_host_device_scalarIT2_EEPKiS8_PKS5_iiSA_S6_PS5_21rocsparse_index_base_b,"axG",@progbits,_ZN9rocsparseL22gebsrmvn_mxn_16_kernelILj60ELj12ELj1E21rocsparse_complex_numIdEEEvi20rocsparse_direction_NS_24const_host_device_scalarIT2_EEPKiS8_PKS5_iiSA_S6_PS5_21rocsparse_index_base_b,comdat
.Lfunc_end128:
	.size	_ZN9rocsparseL22gebsrmvn_mxn_16_kernelILj60ELj12ELj1E21rocsparse_complex_numIdEEEvi20rocsparse_direction_NS_24const_host_device_scalarIT2_EEPKiS8_PKS5_iiSA_S6_PS5_21rocsparse_index_base_b, .Lfunc_end128-_ZN9rocsparseL22gebsrmvn_mxn_16_kernelILj60ELj12ELj1E21rocsparse_complex_numIdEEEvi20rocsparse_direction_NS_24const_host_device_scalarIT2_EEPKiS8_PKS5_iiSA_S6_PS5_21rocsparse_index_base_b
                                        ; -- End function
	.set _ZN9rocsparseL22gebsrmvn_mxn_16_kernelILj60ELj12ELj1E21rocsparse_complex_numIdEEEvi20rocsparse_direction_NS_24const_host_device_scalarIT2_EEPKiS8_PKS5_iiSA_S6_PS5_21rocsparse_index_base_b.num_vgpr, 26
	.set _ZN9rocsparseL22gebsrmvn_mxn_16_kernelILj60ELj12ELj1E21rocsparse_complex_numIdEEEvi20rocsparse_direction_NS_24const_host_device_scalarIT2_EEPKiS8_PKS5_iiSA_S6_PS5_21rocsparse_index_base_b.num_agpr, 0
	.set _ZN9rocsparseL22gebsrmvn_mxn_16_kernelILj60ELj12ELj1E21rocsparse_complex_numIdEEEvi20rocsparse_direction_NS_24const_host_device_scalarIT2_EEPKiS8_PKS5_iiSA_S6_PS5_21rocsparse_index_base_b.numbered_sgpr, 16
	.set _ZN9rocsparseL22gebsrmvn_mxn_16_kernelILj60ELj12ELj1E21rocsparse_complex_numIdEEEvi20rocsparse_direction_NS_24const_host_device_scalarIT2_EEPKiS8_PKS5_iiSA_S6_PS5_21rocsparse_index_base_b.num_named_barrier, 0
	.set _ZN9rocsparseL22gebsrmvn_mxn_16_kernelILj60ELj12ELj1E21rocsparse_complex_numIdEEEvi20rocsparse_direction_NS_24const_host_device_scalarIT2_EEPKiS8_PKS5_iiSA_S6_PS5_21rocsparse_index_base_b.private_seg_size, 0
	.set _ZN9rocsparseL22gebsrmvn_mxn_16_kernelILj60ELj12ELj1E21rocsparse_complex_numIdEEEvi20rocsparse_direction_NS_24const_host_device_scalarIT2_EEPKiS8_PKS5_iiSA_S6_PS5_21rocsparse_index_base_b.uses_vcc, 1
	.set _ZN9rocsparseL22gebsrmvn_mxn_16_kernelILj60ELj12ELj1E21rocsparse_complex_numIdEEEvi20rocsparse_direction_NS_24const_host_device_scalarIT2_EEPKiS8_PKS5_iiSA_S6_PS5_21rocsparse_index_base_b.uses_flat_scratch, 0
	.set _ZN9rocsparseL22gebsrmvn_mxn_16_kernelILj60ELj12ELj1E21rocsparse_complex_numIdEEEvi20rocsparse_direction_NS_24const_host_device_scalarIT2_EEPKiS8_PKS5_iiSA_S6_PS5_21rocsparse_index_base_b.has_dyn_sized_stack, 0
	.set _ZN9rocsparseL22gebsrmvn_mxn_16_kernelILj60ELj12ELj1E21rocsparse_complex_numIdEEEvi20rocsparse_direction_NS_24const_host_device_scalarIT2_EEPKiS8_PKS5_iiSA_S6_PS5_21rocsparse_index_base_b.has_recursion, 0
	.set _ZN9rocsparseL22gebsrmvn_mxn_16_kernelILj60ELj12ELj1E21rocsparse_complex_numIdEEEvi20rocsparse_direction_NS_24const_host_device_scalarIT2_EEPKiS8_PKS5_iiSA_S6_PS5_21rocsparse_index_base_b.has_indirect_call, 0
	.section	.AMDGPU.csdata,"",@progbits
; Kernel info:
; codeLenInByte = 932
; TotalNumSgprs: 20
; NumVgprs: 26
; ScratchSize: 0
; MemoryBound: 0
; FloatMode: 240
; IeeeMode: 1
; LDSByteSize: 960 bytes/workgroup (compile time only)
; SGPRBlocks: 2
; VGPRBlocks: 6
; NumSGPRsForWavesPerEU: 20
; NumVGPRsForWavesPerEU: 26
; Occupancy: 9
; WaveLimiterHint : 1
; COMPUTE_PGM_RSRC2:SCRATCH_EN: 0
; COMPUTE_PGM_RSRC2:USER_SGPR: 6
; COMPUTE_PGM_RSRC2:TRAP_HANDLER: 0
; COMPUTE_PGM_RSRC2:TGID_X_EN: 1
; COMPUTE_PGM_RSRC2:TGID_Y_EN: 0
; COMPUTE_PGM_RSRC2:TGID_Z_EN: 0
; COMPUTE_PGM_RSRC2:TIDIG_COMP_CNT: 0
	.section	.text._ZN9rocsparseL22gebsrmvn_mxn_16_kernelILj48ELj12ELj2E21rocsparse_complex_numIdEEEvi20rocsparse_direction_NS_24const_host_device_scalarIT2_EEPKiS8_PKS5_iiSA_S6_PS5_21rocsparse_index_base_b,"axG",@progbits,_ZN9rocsparseL22gebsrmvn_mxn_16_kernelILj48ELj12ELj2E21rocsparse_complex_numIdEEEvi20rocsparse_direction_NS_24const_host_device_scalarIT2_EEPKiS8_PKS5_iiSA_S6_PS5_21rocsparse_index_base_b,comdat
	.globl	_ZN9rocsparseL22gebsrmvn_mxn_16_kernelILj48ELj12ELj2E21rocsparse_complex_numIdEEEvi20rocsparse_direction_NS_24const_host_device_scalarIT2_EEPKiS8_PKS5_iiSA_S6_PS5_21rocsparse_index_base_b ; -- Begin function _ZN9rocsparseL22gebsrmvn_mxn_16_kernelILj48ELj12ELj2E21rocsparse_complex_numIdEEEvi20rocsparse_direction_NS_24const_host_device_scalarIT2_EEPKiS8_PKS5_iiSA_S6_PS5_21rocsparse_index_base_b
	.p2align	8
	.type	_ZN9rocsparseL22gebsrmvn_mxn_16_kernelILj48ELj12ELj2E21rocsparse_complex_numIdEEEvi20rocsparse_direction_NS_24const_host_device_scalarIT2_EEPKiS8_PKS5_iiSA_S6_PS5_21rocsparse_index_base_b,@function
_ZN9rocsparseL22gebsrmvn_mxn_16_kernelILj48ELj12ELj2E21rocsparse_complex_numIdEEEvi20rocsparse_direction_NS_24const_host_device_scalarIT2_EEPKiS8_PKS5_iiSA_S6_PS5_21rocsparse_index_base_b: ; @_ZN9rocsparseL22gebsrmvn_mxn_16_kernelILj48ELj12ELj2E21rocsparse_complex_numIdEEEvi20rocsparse_direction_NS_24const_host_device_scalarIT2_EEPKiS8_PKS5_iiSA_S6_PS5_21rocsparse_index_base_b
; %bb.0:
	s_load_dwordx2 s[0:1], s[4:5], 0x8
	s_load_dwordx2 s[2:3], s[4:5], 0x40
	;; [unrolled: 1-line block ×3, first 2 shown]
	s_add_u32 s7, s4, 8
	s_addc_u32 s8, s5, 0
	s_add_u32 s9, s4, 64
	s_addc_u32 s12, s5, 0
	s_waitcnt lgkmcnt(0)
	s_bitcmp1_b32 s11, 0
	s_cselect_b32 s1, s8, s1
	s_cselect_b32 s0, s7, s0
	v_mov_b32_e32 v1, s0
	v_mov_b32_e32 v2, s1
	flat_load_dwordx4 v[5:8], v[1:2]
	s_cselect_b32 s0, s12, s3
	s_cselect_b32 s1, s9, s2
	v_mov_b32_e32 v1, s1
	v_mov_b32_e32 v2, s0
	flat_load_dwordx4 v[1:4], v[1:2]
	s_waitcnt vmcnt(0) lgkmcnt(0)
	v_cmp_eq_f64_e32 vcc, 0, v[5:6]
	v_cmp_eq_f64_e64 s[0:1], 0, v[7:8]
	s_and_b64 s[8:9], vcc, s[0:1]
	s_mov_b64 s[0:1], -1
	s_and_saveexec_b64 s[2:3], s[8:9]
	s_cbranch_execz .LBB129_2
; %bb.1:
	v_cmp_neq_f64_e32 vcc, 1.0, v[1:2]
	v_cmp_neq_f64_e64 s[0:1], 0, v[3:4]
	s_or_b64 s[0:1], vcc, s[0:1]
	s_orn2_b64 s[0:1], s[0:1], exec
.LBB129_2:
	s_or_b64 exec, exec, s[2:3]
	s_and_saveexec_b64 s[2:3], s[0:1]
	s_cbranch_execz .LBB129_29
; %bb.3:
	s_load_dword s2, s[4:5], 0x4
	s_load_dwordx2 s[0:1], s[4:5], 0x18
	v_and_b32_e32 v17, 1, v0
	v_mov_b32_e32 v18, v17
	s_waitcnt lgkmcnt(0)
	s_cmp_lg_u32 s2, 1
	s_cselect_b64 s[12:13], -1, 0
	s_and_b64 vcc, exec, s[12:13]
	s_cbranch_vccnz .LBB129_5
; %bb.4:
	v_mul_u32_u24_e32 v9, 0x1556, v0
	v_bfe_u32 v18, v9, 16, 1
.LBB129_5:
	s_ashr_i32 s7, s6, 31
	s_lshl_b64 s[2:3], s[6:7], 2
	s_add_u32 s0, s0, s2
	s_addc_u32 s1, s1, s3
	s_load_dwordx2 s[16:17], s[0:1], 0x0
	s_load_dwordx2 s[8:9], s[4:5], 0x50
	v_mov_b32_e32 v11, 0
	v_mov_b32_e32 v9, 0
	;; [unrolled: 1-line block ×3, first 2 shown]
	s_waitcnt lgkmcnt(0)
	s_cmp_ge_i32 s16, s17
	v_mov_b32_e32 v10, 0
	s_cbranch_scc1 .LBB129_10
; %bb.6:
	s_load_dwordx4 s[0:3], s[4:5], 0x20
	s_load_dwordx2 s[14:15], s[4:5], 0x38
	v_mad_u64_u32 v[9:10], s[4:5], s16, 24, v[0:1]
	s_mul_i32 s4, s10, 24
	v_mov_b32_e32 v11, 0
	v_subrev_u32_e32 v13, s4, v9
	v_mov_b32_e32 v12, 0
	v_mov_b32_e32 v9, v11
	s_sub_i32 s7, s17, s10
	s_sub_i32 s11, s16, s10
	v_mul_u32_u24_e32 v19, 0xaab, v0
	v_mov_b32_e32 v14, 0
	v_mov_b32_e32 v10, v12
	s_branch .LBB129_8
.LBB129_7:                              ;   in Loop: Header=BB129_8 Depth=1
	s_or_b64 exec, exec, s[4:5]
	s_add_i32 s11, s11, 2
	s_cmp_ge_i32 s11, s7
	v_add_u32_e32 v13, 48, v13
	s_cbranch_scc1 .LBB129_10
.LBB129_8:                              ; =>This Inner Loop Header: Depth=1
	v_add_u32_sdwa v15, v19, s11 dst_sel:DWORD dst_unused:UNUSED_PAD src0_sel:WORD_1 src1_sel:DWORD
	v_cmp_gt_i32_e32 vcc, s7, v15
	s_and_saveexec_b64 s[4:5], vcc
	s_cbranch_execz .LBB129_7
; %bb.9:                                ;   in Loop: Header=BB129_8 Depth=1
	v_ashrrev_i32_e32 v16, 31, v15
	v_lshlrev_b64 v[15:16], 2, v[15:16]
	s_waitcnt lgkmcnt(0)
	v_mov_b32_e32 v20, s1
	v_add_co_u32_e32 v15, vcc, s0, v15
	v_addc_co_u32_e32 v16, vcc, v20, v16, vcc
	global_load_dword v24, v[15:16], off
	v_lshlrev_b64 v[15:16], 4, v[13:14]
	v_mov_b32_e32 v20, s3
	v_add_co_u32_e32 v15, vcc, s2, v15
	v_addc_co_u32_e32 v16, vcc, v20, v16, vcc
	global_load_dwordx4 v[20:23], v[15:16], off
	v_mov_b32_e32 v25, s15
	s_waitcnt vmcnt(1)
	v_subrev_u32_e32 v15, s10, v24
	v_lshl_or_b32 v15, v15, 1, v18
	v_ashrrev_i32_e32 v16, 31, v15
	v_lshlrev_b64 v[15:16], 4, v[15:16]
	v_add_co_u32_e32 v15, vcc, s14, v15
	v_addc_co_u32_e32 v16, vcc, v25, v16, vcc
	global_load_dwordx4 v[24:27], v[15:16], off
	s_waitcnt vmcnt(0)
	v_fma_f64 v[9:10], v[20:21], v[24:25], v[9:10]
	v_fma_f64 v[11:12], v[22:23], v[24:25], v[11:12]
	v_fma_f64 v[9:10], -v[22:23], v[26:27], v[9:10]
	v_fma_f64 v[11:12], v[20:21], v[26:27], v[11:12]
	s_branch .LBB129_7
.LBB129_10:
	v_lshlrev_b32_e32 v18, 4, v0
	v_cmp_gt_u32_e32 vcc, 24, v0
	ds_write_b128 v18, v[9:12]
	s_waitcnt lgkmcnt(0)
	; wave barrier
	s_and_saveexec_b64 s[0:1], vcc
	s_cbranch_execz .LBB129_12
; %bb.11:
	ds_read_b128 v[13:16], v18 offset:384
	ds_read_b128 v[19:22], v18
	s_waitcnt lgkmcnt(0)
	v_add_f64 v[13:14], v[13:14], v[19:20]
	v_add_f64 v[15:16], v[15:16], v[21:22]
	ds_write_b128 v18, v[13:16]
.LBB129_12:
	s_or_b64 exec, exec, s[0:1]
	s_and_b64 vcc, exec, s[12:13]
	s_waitcnt lgkmcnt(0)
	; wave barrier
	s_cbranch_vccz .LBB129_18
; %bb.13:
	v_cmp_eq_u32_e32 vcc, 0, v17
	s_and_saveexec_b64 s[0:1], vcc
	s_cbranch_execz .LBB129_15
; %bb.14:
	ds_read_b128 v[13:16], v18
	ds_read_b128 v[19:22], v18 offset:16
	s_waitcnt lgkmcnt(0)
	v_add_f64 v[13:14], v[19:20], v[13:14]
	v_add_f64 v[15:16], v[21:22], v[15:16]
	ds_write_b128 v18, v[13:16]
.LBB129_15:
	s_or_b64 exec, exec, s[0:1]
	v_mov_b32_e32 v16, v12
	v_mov_b32_e32 v14, v10
	v_cmp_gt_u32_e32 vcc, 12, v0
	v_mov_b32_e32 v15, v11
	v_mov_b32_e32 v13, v9
	s_waitcnt lgkmcnt(0)
	; wave barrier
	s_and_saveexec_b64 s[0:1], vcc
; %bb.16:
	v_lshl_add_u32 v13, v0, 4, v18
	ds_read_b128 v[13:16], v13
; %bb.17:
	s_or_b64 exec, exec, s[0:1]
	s_branch .LBB129_24
.LBB129_18:
                                        ; implicit-def: $vgpr15_vgpr16
	s_cbranch_execz .LBB129_24
; %bb.19:
	v_cmp_lt_u32_e32 vcc, 11, v0
	s_and_saveexec_b64 s[0:1], vcc
	s_xor_b64 s[0:1], exec, s[0:1]
	s_cbranch_execz .LBB129_21
; %bb.20:
	s_waitcnt lgkmcnt(0)
                                        ; implicit-def: $vgpr18
.LBB129_21:
	s_andn2_saveexec_b64 s[0:1], s[0:1]
	s_cbranch_execz .LBB129_23
; %bb.22:
	ds_read_b128 v[9:12], v18 offset:192
	s_waitcnt lgkmcnt(1)
	ds_read_b128 v[13:16], v18
	s_waitcnt lgkmcnt(0)
	v_add_f64 v[9:10], v[9:10], v[13:14]
	v_add_f64 v[11:12], v[11:12], v[15:16]
	ds_write_b128 v18, v[9:12]
	s_waitcnt lgkmcnt(0)
	ds_read_b128 v[9:12], v18
.LBB129_23:
	s_or_b64 exec, exec, s[0:1]
	s_waitcnt lgkmcnt(0)
	v_mov_b32_e32 v14, v10
	v_mov_b32_e32 v16, v12
	v_mov_b32_e32 v13, v9
	v_mov_b32_e32 v15, v11
.LBB129_24:
	v_cmp_gt_u32_e32 vcc, 12, v0
	s_and_b64 exec, exec, vcc
	s_cbranch_execz .LBB129_29
; %bb.25:
	s_waitcnt lgkmcnt(0)
	v_mul_f64 v[9:10], v[15:16], -v[7:8]
	v_mul_f64 v[11:12], v[5:6], v[15:16]
	v_cmp_eq_f64_e32 vcc, 0, v[1:2]
	v_cmp_eq_f64_e64 s[0:1], 0, v[3:4]
	v_fma_f64 v[5:6], v[5:6], v[13:14], v[9:10]
	v_fma_f64 v[7:8], v[7:8], v[13:14], v[11:12]
	s_and_b64 s[0:1], vcc, s[0:1]
	s_and_saveexec_b64 s[2:3], s[0:1]
	s_xor_b64 s[0:1], exec, s[2:3]
	s_cbranch_execz .LBB129_27
; %bb.26:
	v_mad_u64_u32 v[0:1], s[2:3], s6, 12, v[0:1]
	v_mov_b32_e32 v1, 0
	v_mov_b32_e32 v2, s9
	v_lshlrev_b64 v[0:1], 4, v[0:1]
	v_add_co_u32_e32 v0, vcc, s8, v0
	v_addc_co_u32_e32 v1, vcc, v2, v1, vcc
	global_store_dwordx4 v[0:1], v[5:8], off
                                        ; implicit-def: $vgpr0
                                        ; implicit-def: $vgpr1_vgpr2
                                        ; implicit-def: $vgpr5_vgpr6
.LBB129_27:
	s_andn2_saveexec_b64 s[0:1], s[0:1]
	s_cbranch_execz .LBB129_29
; %bb.28:
	v_mad_u64_u32 v[9:10], s[0:1], s6, 12, v[0:1]
	v_mov_b32_e32 v10, 0
	v_mov_b32_e32 v0, s9
	v_lshlrev_b64 v[9:10], 4, v[9:10]
	v_add_co_u32_e32 v13, vcc, s8, v9
	v_addc_co_u32_e32 v14, vcc, v0, v10, vcc
	global_load_dwordx4 v[9:12], v[13:14], off
	s_waitcnt vmcnt(0)
	v_fma_f64 v[5:6], v[1:2], v[9:10], v[5:6]
	v_fma_f64 v[7:8], v[3:4], v[9:10], v[7:8]
	v_fma_f64 v[3:4], -v[3:4], v[11:12], v[5:6]
	v_fma_f64 v[5:6], v[1:2], v[11:12], v[7:8]
	global_store_dwordx4 v[13:14], v[3:6], off
.LBB129_29:
	s_endpgm
	.section	.rodata,"a",@progbits
	.p2align	6, 0x0
	.amdhsa_kernel _ZN9rocsparseL22gebsrmvn_mxn_16_kernelILj48ELj12ELj2E21rocsparse_complex_numIdEEEvi20rocsparse_direction_NS_24const_host_device_scalarIT2_EEPKiS8_PKS5_iiSA_S6_PS5_21rocsparse_index_base_b
		.amdhsa_group_segment_fixed_size 768
		.amdhsa_private_segment_fixed_size 0
		.amdhsa_kernarg_size 96
		.amdhsa_user_sgpr_count 6
		.amdhsa_user_sgpr_private_segment_buffer 1
		.amdhsa_user_sgpr_dispatch_ptr 0
		.amdhsa_user_sgpr_queue_ptr 0
		.amdhsa_user_sgpr_kernarg_segment_ptr 1
		.amdhsa_user_sgpr_dispatch_id 0
		.amdhsa_user_sgpr_flat_scratch_init 0
		.amdhsa_user_sgpr_private_segment_size 0
		.amdhsa_uses_dynamic_stack 0
		.amdhsa_system_sgpr_private_segment_wavefront_offset 0
		.amdhsa_system_sgpr_workgroup_id_x 1
		.amdhsa_system_sgpr_workgroup_id_y 0
		.amdhsa_system_sgpr_workgroup_id_z 0
		.amdhsa_system_sgpr_workgroup_info 0
		.amdhsa_system_vgpr_workitem_id 0
		.amdhsa_next_free_vgpr 28
		.amdhsa_next_free_sgpr 18
		.amdhsa_reserve_vcc 1
		.amdhsa_reserve_flat_scratch 0
		.amdhsa_float_round_mode_32 0
		.amdhsa_float_round_mode_16_64 0
		.amdhsa_float_denorm_mode_32 3
		.amdhsa_float_denorm_mode_16_64 3
		.amdhsa_dx10_clamp 1
		.amdhsa_ieee_mode 1
		.amdhsa_fp16_overflow 0
		.amdhsa_exception_fp_ieee_invalid_op 0
		.amdhsa_exception_fp_denorm_src 0
		.amdhsa_exception_fp_ieee_div_zero 0
		.amdhsa_exception_fp_ieee_overflow 0
		.amdhsa_exception_fp_ieee_underflow 0
		.amdhsa_exception_fp_ieee_inexact 0
		.amdhsa_exception_int_div_zero 0
	.end_amdhsa_kernel
	.section	.text._ZN9rocsparseL22gebsrmvn_mxn_16_kernelILj48ELj12ELj2E21rocsparse_complex_numIdEEEvi20rocsparse_direction_NS_24const_host_device_scalarIT2_EEPKiS8_PKS5_iiSA_S6_PS5_21rocsparse_index_base_b,"axG",@progbits,_ZN9rocsparseL22gebsrmvn_mxn_16_kernelILj48ELj12ELj2E21rocsparse_complex_numIdEEEvi20rocsparse_direction_NS_24const_host_device_scalarIT2_EEPKiS8_PKS5_iiSA_S6_PS5_21rocsparse_index_base_b,comdat
.Lfunc_end129:
	.size	_ZN9rocsparseL22gebsrmvn_mxn_16_kernelILj48ELj12ELj2E21rocsparse_complex_numIdEEEvi20rocsparse_direction_NS_24const_host_device_scalarIT2_EEPKiS8_PKS5_iiSA_S6_PS5_21rocsparse_index_base_b, .Lfunc_end129-_ZN9rocsparseL22gebsrmvn_mxn_16_kernelILj48ELj12ELj2E21rocsparse_complex_numIdEEEvi20rocsparse_direction_NS_24const_host_device_scalarIT2_EEPKiS8_PKS5_iiSA_S6_PS5_21rocsparse_index_base_b
                                        ; -- End function
	.set _ZN9rocsparseL22gebsrmvn_mxn_16_kernelILj48ELj12ELj2E21rocsparse_complex_numIdEEEvi20rocsparse_direction_NS_24const_host_device_scalarIT2_EEPKiS8_PKS5_iiSA_S6_PS5_21rocsparse_index_base_b.num_vgpr, 28
	.set _ZN9rocsparseL22gebsrmvn_mxn_16_kernelILj48ELj12ELj2E21rocsparse_complex_numIdEEEvi20rocsparse_direction_NS_24const_host_device_scalarIT2_EEPKiS8_PKS5_iiSA_S6_PS5_21rocsparse_index_base_b.num_agpr, 0
	.set _ZN9rocsparseL22gebsrmvn_mxn_16_kernelILj48ELj12ELj2E21rocsparse_complex_numIdEEEvi20rocsparse_direction_NS_24const_host_device_scalarIT2_EEPKiS8_PKS5_iiSA_S6_PS5_21rocsparse_index_base_b.numbered_sgpr, 18
	.set _ZN9rocsparseL22gebsrmvn_mxn_16_kernelILj48ELj12ELj2E21rocsparse_complex_numIdEEEvi20rocsparse_direction_NS_24const_host_device_scalarIT2_EEPKiS8_PKS5_iiSA_S6_PS5_21rocsparse_index_base_b.num_named_barrier, 0
	.set _ZN9rocsparseL22gebsrmvn_mxn_16_kernelILj48ELj12ELj2E21rocsparse_complex_numIdEEEvi20rocsparse_direction_NS_24const_host_device_scalarIT2_EEPKiS8_PKS5_iiSA_S6_PS5_21rocsparse_index_base_b.private_seg_size, 0
	.set _ZN9rocsparseL22gebsrmvn_mxn_16_kernelILj48ELj12ELj2E21rocsparse_complex_numIdEEEvi20rocsparse_direction_NS_24const_host_device_scalarIT2_EEPKiS8_PKS5_iiSA_S6_PS5_21rocsparse_index_base_b.uses_vcc, 1
	.set _ZN9rocsparseL22gebsrmvn_mxn_16_kernelILj48ELj12ELj2E21rocsparse_complex_numIdEEEvi20rocsparse_direction_NS_24const_host_device_scalarIT2_EEPKiS8_PKS5_iiSA_S6_PS5_21rocsparse_index_base_b.uses_flat_scratch, 0
	.set _ZN9rocsparseL22gebsrmvn_mxn_16_kernelILj48ELj12ELj2E21rocsparse_complex_numIdEEEvi20rocsparse_direction_NS_24const_host_device_scalarIT2_EEPKiS8_PKS5_iiSA_S6_PS5_21rocsparse_index_base_b.has_dyn_sized_stack, 0
	.set _ZN9rocsparseL22gebsrmvn_mxn_16_kernelILj48ELj12ELj2E21rocsparse_complex_numIdEEEvi20rocsparse_direction_NS_24const_host_device_scalarIT2_EEPKiS8_PKS5_iiSA_S6_PS5_21rocsparse_index_base_b.has_recursion, 0
	.set _ZN9rocsparseL22gebsrmvn_mxn_16_kernelILj48ELj12ELj2E21rocsparse_complex_numIdEEEvi20rocsparse_direction_NS_24const_host_device_scalarIT2_EEPKiS8_PKS5_iiSA_S6_PS5_21rocsparse_index_base_b.has_indirect_call, 0
	.section	.AMDGPU.csdata,"",@progbits
; Kernel info:
; codeLenInByte = 1072
; TotalNumSgprs: 22
; NumVgprs: 28
; ScratchSize: 0
; MemoryBound: 0
; FloatMode: 240
; IeeeMode: 1
; LDSByteSize: 768 bytes/workgroup (compile time only)
; SGPRBlocks: 2
; VGPRBlocks: 6
; NumSGPRsForWavesPerEU: 22
; NumVGPRsForWavesPerEU: 28
; Occupancy: 9
; WaveLimiterHint : 1
; COMPUTE_PGM_RSRC2:SCRATCH_EN: 0
; COMPUTE_PGM_RSRC2:USER_SGPR: 6
; COMPUTE_PGM_RSRC2:TRAP_HANDLER: 0
; COMPUTE_PGM_RSRC2:TGID_X_EN: 1
; COMPUTE_PGM_RSRC2:TGID_Y_EN: 0
; COMPUTE_PGM_RSRC2:TGID_Z_EN: 0
; COMPUTE_PGM_RSRC2:TIDIG_COMP_CNT: 0
	.section	.text._ZN9rocsparseL22gebsrmvn_mxn_16_kernelILj48ELj12ELj3E21rocsparse_complex_numIdEEEvi20rocsparse_direction_NS_24const_host_device_scalarIT2_EEPKiS8_PKS5_iiSA_S6_PS5_21rocsparse_index_base_b,"axG",@progbits,_ZN9rocsparseL22gebsrmvn_mxn_16_kernelILj48ELj12ELj3E21rocsparse_complex_numIdEEEvi20rocsparse_direction_NS_24const_host_device_scalarIT2_EEPKiS8_PKS5_iiSA_S6_PS5_21rocsparse_index_base_b,comdat
	.globl	_ZN9rocsparseL22gebsrmvn_mxn_16_kernelILj48ELj12ELj3E21rocsparse_complex_numIdEEEvi20rocsparse_direction_NS_24const_host_device_scalarIT2_EEPKiS8_PKS5_iiSA_S6_PS5_21rocsparse_index_base_b ; -- Begin function _ZN9rocsparseL22gebsrmvn_mxn_16_kernelILj48ELj12ELj3E21rocsparse_complex_numIdEEEvi20rocsparse_direction_NS_24const_host_device_scalarIT2_EEPKiS8_PKS5_iiSA_S6_PS5_21rocsparse_index_base_b
	.p2align	8
	.type	_ZN9rocsparseL22gebsrmvn_mxn_16_kernelILj48ELj12ELj3E21rocsparse_complex_numIdEEEvi20rocsparse_direction_NS_24const_host_device_scalarIT2_EEPKiS8_PKS5_iiSA_S6_PS5_21rocsparse_index_base_b,@function
_ZN9rocsparseL22gebsrmvn_mxn_16_kernelILj48ELj12ELj3E21rocsparse_complex_numIdEEEvi20rocsparse_direction_NS_24const_host_device_scalarIT2_EEPKiS8_PKS5_iiSA_S6_PS5_21rocsparse_index_base_b: ; @_ZN9rocsparseL22gebsrmvn_mxn_16_kernelILj48ELj12ELj3E21rocsparse_complex_numIdEEEvi20rocsparse_direction_NS_24const_host_device_scalarIT2_EEPKiS8_PKS5_iiSA_S6_PS5_21rocsparse_index_base_b
; %bb.0:
	s_load_dwordx2 s[0:1], s[4:5], 0x8
	s_load_dwordx2 s[2:3], s[4:5], 0x40
	;; [unrolled: 1-line block ×3, first 2 shown]
	s_add_u32 s7, s4, 8
	s_addc_u32 s8, s5, 0
	s_add_u32 s9, s4, 64
	s_addc_u32 s12, s5, 0
	s_waitcnt lgkmcnt(0)
	s_bitcmp1_b32 s11, 0
	s_cselect_b32 s1, s8, s1
	s_cselect_b32 s0, s7, s0
	v_mov_b32_e32 v1, s0
	v_mov_b32_e32 v2, s1
	flat_load_dwordx4 v[5:8], v[1:2]
	s_cselect_b32 s0, s12, s3
	s_cselect_b32 s1, s9, s2
	v_mov_b32_e32 v1, s1
	v_mov_b32_e32 v2, s0
	flat_load_dwordx4 v[1:4], v[1:2]
	s_waitcnt vmcnt(0) lgkmcnt(0)
	v_cmp_eq_f64_e32 vcc, 0, v[5:6]
	v_cmp_eq_f64_e64 s[0:1], 0, v[7:8]
	s_and_b64 s[8:9], vcc, s[0:1]
	s_mov_b64 s[0:1], -1
	s_and_saveexec_b64 s[2:3], s[8:9]
	s_cbranch_execz .LBB130_2
; %bb.1:
	v_cmp_neq_f64_e32 vcc, 1.0, v[1:2]
	v_cmp_neq_f64_e64 s[0:1], 0, v[3:4]
	s_or_b64 s[0:1], vcc, s[0:1]
	s_orn2_b64 s[0:1], s[0:1], exec
.LBB130_2:
	s_or_b64 exec, exec, s[2:3]
	s_and_saveexec_b64 s[2:3], s[0:1]
	s_cbranch_execz .LBB130_31
; %bb.3:
	s_load_dwordx2 s[0:1], s[4:5], 0x18
	s_load_dword s2, s[4:5], 0x4
	v_mul_u32_u24_e32 v10, 0x5556, v0
	v_mov_b32_e32 v9, 3
	v_mul_lo_u16_sdwa v10, v10, v9 dst_sel:DWORD dst_unused:UNUSED_PAD src0_sel:WORD_1 src1_sel:DWORD
	v_sub_u16_e32 v18, v0, v10
	s_waitcnt lgkmcnt(0)
	s_cmp_lg_u32 s2, 1
	s_cselect_b64 s[12:13], -1, 0
	s_and_b64 vcc, exec, s[12:13]
	v_mov_b32_e32 v13, v18
	s_cbranch_vccnz .LBB130_5
; %bb.4:
	s_movk_i32 s2, 0x1556
	v_mul_u32_u24_sdwa v10, v0, s2 dst_sel:DWORD dst_unused:UNUSED_PAD src0_sel:WORD_0 src1_sel:DWORD
	s_movk_i32 s2, 0x56
	v_mul_lo_u16_sdwa v11, v10, s2 dst_sel:DWORD dst_unused:UNUSED_PAD src0_sel:WORD_1 src1_sel:DWORD
	v_mul_lo_u16_sdwa v9, v11, v9 dst_sel:DWORD dst_unused:UNUSED_PAD src0_sel:BYTE_1 src1_sel:DWORD
	v_sub_u16_sdwa v9, v10, v9 dst_sel:DWORD dst_unused:UNUSED_PAD src0_sel:WORD_1 src1_sel:DWORD
	v_and_b32_e32 v13, 0xff, v9
.LBB130_5:
	s_ashr_i32 s7, s6, 31
	s_lshl_b64 s[2:3], s[6:7], 2
	s_add_u32 s0, s0, s2
	s_addc_u32 s1, s1, s3
	s_load_dwordx2 s[16:17], s[0:1], 0x0
	s_load_dwordx2 s[8:9], s[4:5], 0x50
	v_mov_b32_e32 v11, 0
	v_mov_b32_e32 v9, 0
	v_mov_b32_e32 v12, 0
	s_waitcnt lgkmcnt(0)
	s_cmp_ge_i32 s16, s17
	v_mov_b32_e32 v10, 0
	s_cbranch_scc1 .LBB130_10
; %bb.6:
	s_load_dwordx4 s[0:3], s[4:5], 0x20
	s_load_dwordx2 s[14:15], s[4:5], 0x38
	v_mad_u64_u32 v[9:10], s[4:5], s16, 36, v[0:1]
	s_movk_i32 s4, 0x71d
	v_mul_u32_u24_sdwa v19, v0, s4 dst_sel:DWORD dst_unused:UNUSED_PAD src0_sel:WORD_0 src1_sel:DWORD
	s_mul_i32 s4, s10, 36
	v_mov_b32_e32 v11, 0
	v_subrev_u32_e32 v14, s4, v9
	v_mov_b32_e32 v12, 0
	v_mov_b32_e32 v9, v11
	s_sub_i32 s7, s17, s10
	s_sub_i32 s11, s16, s10
	v_mov_b32_e32 v15, 0
	v_mov_b32_e32 v10, v12
	s_branch .LBB130_8
.LBB130_7:                              ;   in Loop: Header=BB130_8 Depth=1
	s_or_b64 exec, exec, s[4:5]
	s_add_i32 s11, s11, 1
	s_cmp_ge_i32 s11, s7
	v_add_u32_e32 v14, 36, v14
	s_cbranch_scc1 .LBB130_10
.LBB130_8:                              ; =>This Inner Loop Header: Depth=1
	v_add_u32_sdwa v16, v19, s11 dst_sel:DWORD dst_unused:UNUSED_PAD src0_sel:WORD_1 src1_sel:DWORD
	v_cmp_gt_i32_e32 vcc, s7, v16
	s_and_saveexec_b64 s[4:5], vcc
	s_cbranch_execz .LBB130_7
; %bb.9:                                ;   in Loop: Header=BB130_8 Depth=1
	v_ashrrev_i32_e32 v17, 31, v16
	v_lshlrev_b64 v[16:17], 2, v[16:17]
	s_waitcnt lgkmcnt(0)
	v_mov_b32_e32 v20, s1
	v_add_co_u32_e32 v16, vcc, s0, v16
	v_addc_co_u32_e32 v17, vcc, v20, v17, vcc
	global_load_dword v20, v[16:17], off
	v_lshlrev_b64 v[16:17], 4, v[14:15]
	v_mov_b32_e32 v21, s3
	v_add_co_u32_e32 v16, vcc, s2, v16
	v_addc_co_u32_e32 v17, vcc, v21, v17, vcc
	v_mov_b32_e32 v26, s15
	s_waitcnt vmcnt(0)
	v_subrev_u32_e32 v20, s10, v20
	v_mad_u64_u32 v[24:25], s[16:17], v20, 3, v[13:14]
	global_load_dwordx4 v[20:23], v[16:17], off
	v_ashrrev_i32_e32 v25, 31, v24
	v_lshlrev_b64 v[16:17], 4, v[24:25]
	v_add_co_u32_e32 v16, vcc, s14, v16
	v_addc_co_u32_e32 v17, vcc, v26, v17, vcc
	global_load_dwordx4 v[24:27], v[16:17], off
	s_waitcnt vmcnt(0)
	v_fma_f64 v[9:10], v[20:21], v[24:25], v[9:10]
	v_fma_f64 v[11:12], v[22:23], v[24:25], v[11:12]
	v_fma_f64 v[9:10], -v[22:23], v[26:27], v[9:10]
	v_fma_f64 v[11:12], v[20:21], v[26:27], v[11:12]
	s_branch .LBB130_7
.LBB130_10:
	v_lshlrev_b32_e32 v17, 4, v0
	s_and_b64 vcc, exec, s[12:13]
	ds_write_b128 v17, v[9:12]
	s_waitcnt lgkmcnt(0)
	; wave barrier
	s_cbranch_vccz .LBB130_18
; %bb.11:
	v_cmp_eq_u16_e32 vcc, 0, v18
	s_and_saveexec_b64 s[0:1], vcc
	s_cbranch_execz .LBB130_13
; %bb.12:
	ds_read_b128 v[13:16], v17
	ds_read_b128 v[18:21], v17 offset:32
	s_waitcnt lgkmcnt(0)
	v_add_f64 v[13:14], v[18:19], v[13:14]
	v_add_f64 v[15:16], v[20:21], v[15:16]
	ds_write_b128 v17, v[13:16]
.LBB130_13:
	s_or_b64 exec, exec, s[0:1]
	s_waitcnt lgkmcnt(0)
	; wave barrier
	s_and_saveexec_b64 s[0:1], vcc
	s_cbranch_execz .LBB130_15
; %bb.14:
	ds_read_b128 v[13:16], v17
	ds_read_b128 v[18:21], v17 offset:16
	s_waitcnt lgkmcnt(0)
	v_add_f64 v[13:14], v[18:19], v[13:14]
	v_add_f64 v[15:16], v[20:21], v[15:16]
	ds_write_b128 v17, v[13:16]
.LBB130_15:
	s_or_b64 exec, exec, s[0:1]
	v_mov_b32_e32 v16, v12
	v_mov_b32_e32 v14, v10
	v_cmp_gt_u32_e32 vcc, 12, v0
	v_mov_b32_e32 v15, v11
	v_mov_b32_e32 v13, v9
	s_waitcnt lgkmcnt(0)
	; wave barrier
	s_and_saveexec_b64 s[0:1], vcc
; %bb.16:
	v_lshl_add_u32 v13, v0, 5, v17
	ds_read_b128 v[13:16], v13
; %bb.17:
	s_or_b64 exec, exec, s[0:1]
	v_cmp_gt_u32_e64 s[0:1], 12, v0
	s_branch .LBB130_26
.LBB130_18:
                                        ; implicit-def: $vgpr15_vgpr16
	v_cmp_gt_u32_e64 s[0:1], 12, v0
	s_cbranch_execz .LBB130_26
; %bb.19:
	v_cmp_lt_u32_e32 vcc, 11, v0
	s_and_saveexec_b64 s[2:3], s[0:1]
	s_cbranch_execz .LBB130_21
; %bb.20:
	s_waitcnt lgkmcnt(0)
	ds_read_b128 v[13:16], v17 offset:384
	ds_read_b128 v[18:21], v17
	s_waitcnt lgkmcnt(0)
	v_add_f64 v[13:14], v[13:14], v[18:19]
	v_add_f64 v[15:16], v[15:16], v[20:21]
	ds_write_b128 v17, v[13:16]
.LBB130_21:
	s_or_b64 exec, exec, s[2:3]
	s_waitcnt lgkmcnt(0)
	; wave barrier
	s_and_saveexec_b64 s[0:1], vcc
	s_xor_b64 s[0:1], exec, s[0:1]
; %bb.22:
                                        ; implicit-def: $vgpr17
; %bb.23:
	s_andn2_saveexec_b64 s[0:1], s[0:1]
	s_cbranch_execz .LBB130_25
; %bb.24:
	ds_read_b128 v[9:12], v17 offset:192
	ds_read_b128 v[13:16], v17
	s_waitcnt lgkmcnt(0)
	v_add_f64 v[9:10], v[9:10], v[13:14]
	v_add_f64 v[11:12], v[11:12], v[15:16]
	ds_write_b128 v17, v[9:12]
	s_waitcnt lgkmcnt(0)
	ds_read_b128 v[9:12], v17
.LBB130_25:
	s_or_b64 exec, exec, s[0:1]
	s_waitcnt lgkmcnt(0)
	v_mov_b32_e32 v16, v12
	v_mov_b32_e32 v14, v10
	;; [unrolled: 1-line block ×4, first 2 shown]
.LBB130_26:
	v_cmp_gt_u32_e32 vcc, 12, v0
	s_and_b64 exec, exec, vcc
	s_cbranch_execz .LBB130_31
; %bb.27:
	s_waitcnt lgkmcnt(0)
	v_mul_f64 v[9:10], v[15:16], -v[7:8]
	v_mul_f64 v[11:12], v[5:6], v[15:16]
	v_cmp_eq_f64_e32 vcc, 0, v[1:2]
	v_cmp_eq_f64_e64 s[0:1], 0, v[3:4]
	v_fma_f64 v[5:6], v[5:6], v[13:14], v[9:10]
	v_fma_f64 v[7:8], v[7:8], v[13:14], v[11:12]
	s_and_b64 s[0:1], vcc, s[0:1]
	s_and_saveexec_b64 s[2:3], s[0:1]
	s_xor_b64 s[0:1], exec, s[2:3]
	s_cbranch_execz .LBB130_29
; %bb.28:
	v_mad_u64_u32 v[0:1], s[2:3], s6, 12, v[0:1]
	v_mov_b32_e32 v1, 0
	v_mov_b32_e32 v2, s9
	v_lshlrev_b64 v[0:1], 4, v[0:1]
	v_add_co_u32_e32 v0, vcc, s8, v0
	v_addc_co_u32_e32 v1, vcc, v2, v1, vcc
	global_store_dwordx4 v[0:1], v[5:8], off
                                        ; implicit-def: $vgpr0
                                        ; implicit-def: $vgpr1_vgpr2
                                        ; implicit-def: $vgpr5_vgpr6
.LBB130_29:
	s_andn2_saveexec_b64 s[0:1], s[0:1]
	s_cbranch_execz .LBB130_31
; %bb.30:
	v_mad_u64_u32 v[9:10], s[0:1], s6, 12, v[0:1]
	v_mov_b32_e32 v10, 0
	v_mov_b32_e32 v0, s9
	v_lshlrev_b64 v[9:10], 4, v[9:10]
	v_add_co_u32_e32 v13, vcc, s8, v9
	v_addc_co_u32_e32 v14, vcc, v0, v10, vcc
	global_load_dwordx4 v[9:12], v[13:14], off
	s_waitcnt vmcnt(0)
	v_fma_f64 v[5:6], v[1:2], v[9:10], v[5:6]
	v_fma_f64 v[7:8], v[3:4], v[9:10], v[7:8]
	v_fma_f64 v[3:4], -v[3:4], v[11:12], v[5:6]
	v_fma_f64 v[5:6], v[1:2], v[11:12], v[7:8]
	global_store_dwordx4 v[13:14], v[3:6], off
.LBB130_31:
	s_endpgm
	.section	.rodata,"a",@progbits
	.p2align	6, 0x0
	.amdhsa_kernel _ZN9rocsparseL22gebsrmvn_mxn_16_kernelILj48ELj12ELj3E21rocsparse_complex_numIdEEEvi20rocsparse_direction_NS_24const_host_device_scalarIT2_EEPKiS8_PKS5_iiSA_S6_PS5_21rocsparse_index_base_b
		.amdhsa_group_segment_fixed_size 576
		.amdhsa_private_segment_fixed_size 0
		.amdhsa_kernarg_size 96
		.amdhsa_user_sgpr_count 6
		.amdhsa_user_sgpr_private_segment_buffer 1
		.amdhsa_user_sgpr_dispatch_ptr 0
		.amdhsa_user_sgpr_queue_ptr 0
		.amdhsa_user_sgpr_kernarg_segment_ptr 1
		.amdhsa_user_sgpr_dispatch_id 0
		.amdhsa_user_sgpr_flat_scratch_init 0
		.amdhsa_user_sgpr_private_segment_size 0
		.amdhsa_uses_dynamic_stack 0
		.amdhsa_system_sgpr_private_segment_wavefront_offset 0
		.amdhsa_system_sgpr_workgroup_id_x 1
		.amdhsa_system_sgpr_workgroup_id_y 0
		.amdhsa_system_sgpr_workgroup_id_z 0
		.amdhsa_system_sgpr_workgroup_info 0
		.amdhsa_system_vgpr_workitem_id 0
		.amdhsa_next_free_vgpr 28
		.amdhsa_next_free_sgpr 18
		.amdhsa_reserve_vcc 1
		.amdhsa_reserve_flat_scratch 0
		.amdhsa_float_round_mode_32 0
		.amdhsa_float_round_mode_16_64 0
		.amdhsa_float_denorm_mode_32 3
		.amdhsa_float_denorm_mode_16_64 3
		.amdhsa_dx10_clamp 1
		.amdhsa_ieee_mode 1
		.amdhsa_fp16_overflow 0
		.amdhsa_exception_fp_ieee_invalid_op 0
		.amdhsa_exception_fp_denorm_src 0
		.amdhsa_exception_fp_ieee_div_zero 0
		.amdhsa_exception_fp_ieee_overflow 0
		.amdhsa_exception_fp_ieee_underflow 0
		.amdhsa_exception_fp_ieee_inexact 0
		.amdhsa_exception_int_div_zero 0
	.end_amdhsa_kernel
	.section	.text._ZN9rocsparseL22gebsrmvn_mxn_16_kernelILj48ELj12ELj3E21rocsparse_complex_numIdEEEvi20rocsparse_direction_NS_24const_host_device_scalarIT2_EEPKiS8_PKS5_iiSA_S6_PS5_21rocsparse_index_base_b,"axG",@progbits,_ZN9rocsparseL22gebsrmvn_mxn_16_kernelILj48ELj12ELj3E21rocsparse_complex_numIdEEEvi20rocsparse_direction_NS_24const_host_device_scalarIT2_EEPKiS8_PKS5_iiSA_S6_PS5_21rocsparse_index_base_b,comdat
.Lfunc_end130:
	.size	_ZN9rocsparseL22gebsrmvn_mxn_16_kernelILj48ELj12ELj3E21rocsparse_complex_numIdEEEvi20rocsparse_direction_NS_24const_host_device_scalarIT2_EEPKiS8_PKS5_iiSA_S6_PS5_21rocsparse_index_base_b, .Lfunc_end130-_ZN9rocsparseL22gebsrmvn_mxn_16_kernelILj48ELj12ELj3E21rocsparse_complex_numIdEEEvi20rocsparse_direction_NS_24const_host_device_scalarIT2_EEPKiS8_PKS5_iiSA_S6_PS5_21rocsparse_index_base_b
                                        ; -- End function
	.set _ZN9rocsparseL22gebsrmvn_mxn_16_kernelILj48ELj12ELj3E21rocsparse_complex_numIdEEEvi20rocsparse_direction_NS_24const_host_device_scalarIT2_EEPKiS8_PKS5_iiSA_S6_PS5_21rocsparse_index_base_b.num_vgpr, 28
	.set _ZN9rocsparseL22gebsrmvn_mxn_16_kernelILj48ELj12ELj3E21rocsparse_complex_numIdEEEvi20rocsparse_direction_NS_24const_host_device_scalarIT2_EEPKiS8_PKS5_iiSA_S6_PS5_21rocsparse_index_base_b.num_agpr, 0
	.set _ZN9rocsparseL22gebsrmvn_mxn_16_kernelILj48ELj12ELj3E21rocsparse_complex_numIdEEEvi20rocsparse_direction_NS_24const_host_device_scalarIT2_EEPKiS8_PKS5_iiSA_S6_PS5_21rocsparse_index_base_b.numbered_sgpr, 18
	.set _ZN9rocsparseL22gebsrmvn_mxn_16_kernelILj48ELj12ELj3E21rocsparse_complex_numIdEEEvi20rocsparse_direction_NS_24const_host_device_scalarIT2_EEPKiS8_PKS5_iiSA_S6_PS5_21rocsparse_index_base_b.num_named_barrier, 0
	.set _ZN9rocsparseL22gebsrmvn_mxn_16_kernelILj48ELj12ELj3E21rocsparse_complex_numIdEEEvi20rocsparse_direction_NS_24const_host_device_scalarIT2_EEPKiS8_PKS5_iiSA_S6_PS5_21rocsparse_index_base_b.private_seg_size, 0
	.set _ZN9rocsparseL22gebsrmvn_mxn_16_kernelILj48ELj12ELj3E21rocsparse_complex_numIdEEEvi20rocsparse_direction_NS_24const_host_device_scalarIT2_EEPKiS8_PKS5_iiSA_S6_PS5_21rocsparse_index_base_b.uses_vcc, 1
	.set _ZN9rocsparseL22gebsrmvn_mxn_16_kernelILj48ELj12ELj3E21rocsparse_complex_numIdEEEvi20rocsparse_direction_NS_24const_host_device_scalarIT2_EEPKiS8_PKS5_iiSA_S6_PS5_21rocsparse_index_base_b.uses_flat_scratch, 0
	.set _ZN9rocsparseL22gebsrmvn_mxn_16_kernelILj48ELj12ELj3E21rocsparse_complex_numIdEEEvi20rocsparse_direction_NS_24const_host_device_scalarIT2_EEPKiS8_PKS5_iiSA_S6_PS5_21rocsparse_index_base_b.has_dyn_sized_stack, 0
	.set _ZN9rocsparseL22gebsrmvn_mxn_16_kernelILj48ELj12ELj3E21rocsparse_complex_numIdEEEvi20rocsparse_direction_NS_24const_host_device_scalarIT2_EEPKiS8_PKS5_iiSA_S6_PS5_21rocsparse_index_base_b.has_recursion, 0
	.set _ZN9rocsparseL22gebsrmvn_mxn_16_kernelILj48ELj12ELj3E21rocsparse_complex_numIdEEEvi20rocsparse_direction_NS_24const_host_device_scalarIT2_EEPKiS8_PKS5_iiSA_S6_PS5_21rocsparse_index_base_b.has_indirect_call, 0
	.section	.AMDGPU.csdata,"",@progbits
; Kernel info:
; codeLenInByte = 1192
; TotalNumSgprs: 22
; NumVgprs: 28
; ScratchSize: 0
; MemoryBound: 0
; FloatMode: 240
; IeeeMode: 1
; LDSByteSize: 576 bytes/workgroup (compile time only)
; SGPRBlocks: 2
; VGPRBlocks: 6
; NumSGPRsForWavesPerEU: 22
; NumVGPRsForWavesPerEU: 28
; Occupancy: 9
; WaveLimiterHint : 1
; COMPUTE_PGM_RSRC2:SCRATCH_EN: 0
; COMPUTE_PGM_RSRC2:USER_SGPR: 6
; COMPUTE_PGM_RSRC2:TRAP_HANDLER: 0
; COMPUTE_PGM_RSRC2:TGID_X_EN: 1
; COMPUTE_PGM_RSRC2:TGID_Y_EN: 0
; COMPUTE_PGM_RSRC2:TGID_Z_EN: 0
; COMPUTE_PGM_RSRC2:TIDIG_COMP_CNT: 0
	.section	.text._ZN9rocsparseL22gebsrmvn_mxn_16_kernelILj60ELj12ELj4E21rocsparse_complex_numIdEEEvi20rocsparse_direction_NS_24const_host_device_scalarIT2_EEPKiS8_PKS5_iiSA_S6_PS5_21rocsparse_index_base_b,"axG",@progbits,_ZN9rocsparseL22gebsrmvn_mxn_16_kernelILj60ELj12ELj4E21rocsparse_complex_numIdEEEvi20rocsparse_direction_NS_24const_host_device_scalarIT2_EEPKiS8_PKS5_iiSA_S6_PS5_21rocsparse_index_base_b,comdat
	.globl	_ZN9rocsparseL22gebsrmvn_mxn_16_kernelILj60ELj12ELj4E21rocsparse_complex_numIdEEEvi20rocsparse_direction_NS_24const_host_device_scalarIT2_EEPKiS8_PKS5_iiSA_S6_PS5_21rocsparse_index_base_b ; -- Begin function _ZN9rocsparseL22gebsrmvn_mxn_16_kernelILj60ELj12ELj4E21rocsparse_complex_numIdEEEvi20rocsparse_direction_NS_24const_host_device_scalarIT2_EEPKiS8_PKS5_iiSA_S6_PS5_21rocsparse_index_base_b
	.p2align	8
	.type	_ZN9rocsparseL22gebsrmvn_mxn_16_kernelILj60ELj12ELj4E21rocsparse_complex_numIdEEEvi20rocsparse_direction_NS_24const_host_device_scalarIT2_EEPKiS8_PKS5_iiSA_S6_PS5_21rocsparse_index_base_b,@function
_ZN9rocsparseL22gebsrmvn_mxn_16_kernelILj60ELj12ELj4E21rocsparse_complex_numIdEEEvi20rocsparse_direction_NS_24const_host_device_scalarIT2_EEPKiS8_PKS5_iiSA_S6_PS5_21rocsparse_index_base_b: ; @_ZN9rocsparseL22gebsrmvn_mxn_16_kernelILj60ELj12ELj4E21rocsparse_complex_numIdEEEvi20rocsparse_direction_NS_24const_host_device_scalarIT2_EEPKiS8_PKS5_iiSA_S6_PS5_21rocsparse_index_base_b
; %bb.0:
	s_load_dwordx2 s[0:1], s[4:5], 0x8
	s_load_dwordx2 s[2:3], s[4:5], 0x40
	;; [unrolled: 1-line block ×3, first 2 shown]
	s_add_u32 s7, s4, 8
	s_addc_u32 s8, s5, 0
	s_add_u32 s9, s4, 64
	s_addc_u32 s12, s5, 0
	s_waitcnt lgkmcnt(0)
	s_bitcmp1_b32 s11, 0
	s_cselect_b32 s1, s8, s1
	s_cselect_b32 s0, s7, s0
	v_mov_b32_e32 v1, s0
	v_mov_b32_e32 v2, s1
	flat_load_dwordx4 v[5:8], v[1:2]
	s_cselect_b32 s0, s12, s3
	s_cselect_b32 s1, s9, s2
	v_mov_b32_e32 v1, s1
	v_mov_b32_e32 v2, s0
	flat_load_dwordx4 v[1:4], v[1:2]
	s_waitcnt vmcnt(0) lgkmcnt(0)
	v_cmp_eq_f64_e32 vcc, 0, v[5:6]
	v_cmp_eq_f64_e64 s[0:1], 0, v[7:8]
	s_and_b64 s[8:9], vcc, s[0:1]
	s_mov_b64 s[0:1], -1
	s_and_saveexec_b64 s[2:3], s[8:9]
	s_cbranch_execz .LBB131_2
; %bb.1:
	v_cmp_neq_f64_e32 vcc, 1.0, v[1:2]
	v_cmp_neq_f64_e64 s[0:1], 0, v[3:4]
	s_or_b64 s[0:1], vcc, s[0:1]
	s_orn2_b64 s[0:1], s[0:1], exec
.LBB131_2:
	s_or_b64 exec, exec, s[2:3]
	s_and_saveexec_b64 s[2:3], s[0:1]
	s_cbranch_execz .LBB131_31
; %bb.3:
	s_load_dword s2, s[4:5], 0x4
	s_load_dwordx2 s[0:1], s[4:5], 0x18
	v_and_b32_e32 v17, 3, v0
	v_mov_b32_e32 v18, v17
	s_waitcnt lgkmcnt(0)
	s_cmp_lg_u32 s2, 1
	s_cselect_b64 s[12:13], -1, 0
	s_and_b64 vcc, exec, s[12:13]
	s_cbranch_vccnz .LBB131_5
; %bb.4:
	v_mul_u32_u24_e32 v9, 0x1556, v0
	v_bfe_u32 v18, v9, 16, 2
.LBB131_5:
	s_ashr_i32 s7, s6, 31
	s_lshl_b64 s[2:3], s[6:7], 2
	s_add_u32 s0, s0, s2
	s_addc_u32 s1, s1, s3
	s_load_dwordx2 s[16:17], s[0:1], 0x0
	s_load_dwordx2 s[8:9], s[4:5], 0x50
	v_mov_b32_e32 v11, 0
	v_mov_b32_e32 v9, 0
	;; [unrolled: 1-line block ×3, first 2 shown]
	s_waitcnt lgkmcnt(0)
	s_cmp_ge_i32 s16, s17
	v_mov_b32_e32 v10, 0
	s_cbranch_scc1 .LBB131_10
; %bb.6:
	s_load_dwordx4 s[0:3], s[4:5], 0x20
	s_load_dwordx2 s[14:15], s[4:5], 0x38
	v_mad_u64_u32 v[9:10], s[4:5], s16, 48, v[0:1]
	s_mul_i32 s4, s10, 48
	v_mov_b32_e32 v11, 0
	v_subrev_u32_e32 v13, s4, v9
	v_mov_b32_e32 v12, 0
	v_mov_b32_e32 v9, v11
	s_sub_i32 s7, s17, s10
	s_sub_i32 s11, s16, s10
	v_mul_u32_u24_e32 v19, 0x556, v0
	v_mov_b32_e32 v14, 0
	v_mov_b32_e32 v10, v12
	s_branch .LBB131_8
.LBB131_7:                              ;   in Loop: Header=BB131_8 Depth=1
	s_or_b64 exec, exec, s[4:5]
	s_add_i32 s11, s11, 1
	s_cmp_ge_i32 s11, s7
	v_add_u32_e32 v13, 48, v13
	s_cbranch_scc1 .LBB131_10
.LBB131_8:                              ; =>This Inner Loop Header: Depth=1
	v_add_u32_sdwa v15, v19, s11 dst_sel:DWORD dst_unused:UNUSED_PAD src0_sel:WORD_1 src1_sel:DWORD
	v_cmp_gt_i32_e32 vcc, s7, v15
	s_and_saveexec_b64 s[4:5], vcc
	s_cbranch_execz .LBB131_7
; %bb.9:                                ;   in Loop: Header=BB131_8 Depth=1
	v_ashrrev_i32_e32 v16, 31, v15
	v_lshlrev_b64 v[15:16], 2, v[15:16]
	s_waitcnt lgkmcnt(0)
	v_mov_b32_e32 v20, s1
	v_add_co_u32_e32 v15, vcc, s0, v15
	v_addc_co_u32_e32 v16, vcc, v20, v16, vcc
	global_load_dword v24, v[15:16], off
	v_lshlrev_b64 v[15:16], 4, v[13:14]
	v_mov_b32_e32 v20, s3
	v_add_co_u32_e32 v15, vcc, s2, v15
	v_addc_co_u32_e32 v16, vcc, v20, v16, vcc
	global_load_dwordx4 v[20:23], v[15:16], off
	v_mov_b32_e32 v25, s15
	s_waitcnt vmcnt(1)
	v_subrev_u32_e32 v15, s10, v24
	v_lshl_or_b32 v15, v15, 2, v18
	v_ashrrev_i32_e32 v16, 31, v15
	v_lshlrev_b64 v[15:16], 4, v[15:16]
	v_add_co_u32_e32 v15, vcc, s14, v15
	v_addc_co_u32_e32 v16, vcc, v25, v16, vcc
	global_load_dwordx4 v[24:27], v[15:16], off
	s_waitcnt vmcnt(0)
	v_fma_f64 v[9:10], v[20:21], v[24:25], v[9:10]
	v_fma_f64 v[11:12], v[22:23], v[24:25], v[11:12]
	v_fma_f64 v[9:10], -v[22:23], v[26:27], v[9:10]
	v_fma_f64 v[11:12], v[20:21], v[26:27], v[11:12]
	s_branch .LBB131_7
.LBB131_10:
	v_lshlrev_b32_e32 v18, 4, v0
	s_and_b64 vcc, exec, s[12:13]
	ds_write_b128 v18, v[9:12]
	s_waitcnt lgkmcnt(0)
	; wave barrier
	s_cbranch_vccz .LBB131_18
; %bb.11:
	v_cmp_gt_u32_e32 vcc, 2, v17
	s_and_saveexec_b64 s[0:1], vcc
	s_cbranch_execz .LBB131_13
; %bb.12:
	ds_read_b128 v[13:16], v18
	ds_read_b128 v[19:22], v18 offset:32
	s_waitcnt lgkmcnt(0)
	v_add_f64 v[13:14], v[19:20], v[13:14]
	v_add_f64 v[15:16], v[21:22], v[15:16]
	ds_write_b128 v18, v[13:16]
.LBB131_13:
	s_or_b64 exec, exec, s[0:1]
	v_cmp_eq_u32_e32 vcc, 0, v17
	s_waitcnt lgkmcnt(0)
	; wave barrier
	s_and_saveexec_b64 s[0:1], vcc
	s_cbranch_execz .LBB131_15
; %bb.14:
	ds_read_b128 v[13:16], v18
	ds_read_b128 v[19:22], v18 offset:16
	s_waitcnt lgkmcnt(0)
	v_add_f64 v[13:14], v[19:20], v[13:14]
	v_add_f64 v[15:16], v[21:22], v[15:16]
	ds_write_b128 v18, v[13:16]
.LBB131_15:
	s_or_b64 exec, exec, s[0:1]
	v_mov_b32_e32 v16, v12
	v_mov_b32_e32 v14, v10
	v_cmp_gt_u32_e32 vcc, 12, v0
	v_mov_b32_e32 v15, v11
	v_mov_b32_e32 v13, v9
	s_waitcnt lgkmcnt(0)
	; wave barrier
	s_and_saveexec_b64 s[0:1], vcc
; %bb.16:
	v_mad_u32_u24 v13, v0, 48, v18
	ds_read_b128 v[13:16], v13
; %bb.17:
	s_or_b64 exec, exec, s[0:1]
	s_branch .LBB131_26
.LBB131_18:
                                        ; implicit-def: $vgpr15_vgpr16
	s_cbranch_execz .LBB131_26
; %bb.19:
	v_cmp_gt_u32_e32 vcc, 24, v0
	s_and_saveexec_b64 s[0:1], vcc
	s_cbranch_execz .LBB131_21
; %bb.20:
	s_waitcnt lgkmcnt(0)
	ds_read_b128 v[13:16], v18 offset:384
	ds_read_b128 v[19:22], v18
	s_waitcnt lgkmcnt(0)
	v_add_f64 v[13:14], v[13:14], v[19:20]
	v_add_f64 v[15:16], v[15:16], v[21:22]
	ds_write_b128 v18, v[13:16]
.LBB131_21:
	s_or_b64 exec, exec, s[0:1]
	v_cmp_lt_u32_e32 vcc, 11, v0
	s_waitcnt lgkmcnt(0)
	s_and_saveexec_b64 s[0:1], vcc
	s_xor_b64 s[0:1], exec, s[0:1]
; %bb.22:
                                        ; implicit-def: $vgpr18
; %bb.23:
	s_andn2_saveexec_b64 s[0:1], s[0:1]
	s_cbranch_execz .LBB131_25
; %bb.24:
	ds_read_b128 v[9:12], v18 offset:192
	ds_read_b128 v[13:16], v18
	s_waitcnt lgkmcnt(0)
	v_add_f64 v[9:10], v[9:10], v[13:14]
	v_add_f64 v[11:12], v[11:12], v[15:16]
	ds_write_b128 v18, v[9:12]
	s_waitcnt lgkmcnt(0)
	ds_read_b128 v[9:12], v18
.LBB131_25:
	s_or_b64 exec, exec, s[0:1]
	s_waitcnt lgkmcnt(0)
	v_mov_b32_e32 v16, v12
	v_mov_b32_e32 v14, v10
	v_mov_b32_e32 v15, v11
	v_mov_b32_e32 v13, v9
.LBB131_26:
	v_cmp_gt_u32_e32 vcc, 12, v0
	s_and_b64 exec, exec, vcc
	s_cbranch_execz .LBB131_31
; %bb.27:
	s_waitcnt lgkmcnt(0)
	v_mul_f64 v[9:10], v[15:16], -v[7:8]
	v_mul_f64 v[11:12], v[5:6], v[15:16]
	v_cmp_eq_f64_e32 vcc, 0, v[1:2]
	v_cmp_eq_f64_e64 s[0:1], 0, v[3:4]
	v_fma_f64 v[5:6], v[5:6], v[13:14], v[9:10]
	v_fma_f64 v[7:8], v[7:8], v[13:14], v[11:12]
	s_and_b64 s[0:1], vcc, s[0:1]
	s_and_saveexec_b64 s[2:3], s[0:1]
	s_xor_b64 s[0:1], exec, s[2:3]
	s_cbranch_execz .LBB131_29
; %bb.28:
	v_mad_u64_u32 v[0:1], s[2:3], s6, 12, v[0:1]
	v_mov_b32_e32 v1, 0
	v_mov_b32_e32 v2, s9
	v_lshlrev_b64 v[0:1], 4, v[0:1]
	v_add_co_u32_e32 v0, vcc, s8, v0
	v_addc_co_u32_e32 v1, vcc, v2, v1, vcc
	global_store_dwordx4 v[0:1], v[5:8], off
                                        ; implicit-def: $vgpr0
                                        ; implicit-def: $vgpr1_vgpr2
                                        ; implicit-def: $vgpr5_vgpr6
.LBB131_29:
	s_andn2_saveexec_b64 s[0:1], s[0:1]
	s_cbranch_execz .LBB131_31
; %bb.30:
	v_mad_u64_u32 v[9:10], s[0:1], s6, 12, v[0:1]
	v_mov_b32_e32 v10, 0
	v_mov_b32_e32 v0, s9
	v_lshlrev_b64 v[9:10], 4, v[9:10]
	v_add_co_u32_e32 v13, vcc, s8, v9
	v_addc_co_u32_e32 v14, vcc, v0, v10, vcc
	global_load_dwordx4 v[9:12], v[13:14], off
	s_waitcnt vmcnt(0)
	v_fma_f64 v[5:6], v[1:2], v[9:10], v[5:6]
	v_fma_f64 v[7:8], v[3:4], v[9:10], v[7:8]
	v_fma_f64 v[3:4], -v[3:4], v[11:12], v[5:6]
	v_fma_f64 v[5:6], v[1:2], v[11:12], v[7:8]
	global_store_dwordx4 v[13:14], v[3:6], off
.LBB131_31:
	s_endpgm
	.section	.rodata,"a",@progbits
	.p2align	6, 0x0
	.amdhsa_kernel _ZN9rocsparseL22gebsrmvn_mxn_16_kernelILj60ELj12ELj4E21rocsparse_complex_numIdEEEvi20rocsparse_direction_NS_24const_host_device_scalarIT2_EEPKiS8_PKS5_iiSA_S6_PS5_21rocsparse_index_base_b
		.amdhsa_group_segment_fixed_size 768
		.amdhsa_private_segment_fixed_size 0
		.amdhsa_kernarg_size 96
		.amdhsa_user_sgpr_count 6
		.amdhsa_user_sgpr_private_segment_buffer 1
		.amdhsa_user_sgpr_dispatch_ptr 0
		.amdhsa_user_sgpr_queue_ptr 0
		.amdhsa_user_sgpr_kernarg_segment_ptr 1
		.amdhsa_user_sgpr_dispatch_id 0
		.amdhsa_user_sgpr_flat_scratch_init 0
		.amdhsa_user_sgpr_private_segment_size 0
		.amdhsa_uses_dynamic_stack 0
		.amdhsa_system_sgpr_private_segment_wavefront_offset 0
		.amdhsa_system_sgpr_workgroup_id_x 1
		.amdhsa_system_sgpr_workgroup_id_y 0
		.amdhsa_system_sgpr_workgroup_id_z 0
		.amdhsa_system_sgpr_workgroup_info 0
		.amdhsa_system_vgpr_workitem_id 0
		.amdhsa_next_free_vgpr 28
		.amdhsa_next_free_sgpr 18
		.amdhsa_reserve_vcc 1
		.amdhsa_reserve_flat_scratch 0
		.amdhsa_float_round_mode_32 0
		.amdhsa_float_round_mode_16_64 0
		.amdhsa_float_denorm_mode_32 3
		.amdhsa_float_denorm_mode_16_64 3
		.amdhsa_dx10_clamp 1
		.amdhsa_ieee_mode 1
		.amdhsa_fp16_overflow 0
		.amdhsa_exception_fp_ieee_invalid_op 0
		.amdhsa_exception_fp_denorm_src 0
		.amdhsa_exception_fp_ieee_div_zero 0
		.amdhsa_exception_fp_ieee_overflow 0
		.amdhsa_exception_fp_ieee_underflow 0
		.amdhsa_exception_fp_ieee_inexact 0
		.amdhsa_exception_int_div_zero 0
	.end_amdhsa_kernel
	.section	.text._ZN9rocsparseL22gebsrmvn_mxn_16_kernelILj60ELj12ELj4E21rocsparse_complex_numIdEEEvi20rocsparse_direction_NS_24const_host_device_scalarIT2_EEPKiS8_PKS5_iiSA_S6_PS5_21rocsparse_index_base_b,"axG",@progbits,_ZN9rocsparseL22gebsrmvn_mxn_16_kernelILj60ELj12ELj4E21rocsparse_complex_numIdEEEvi20rocsparse_direction_NS_24const_host_device_scalarIT2_EEPKiS8_PKS5_iiSA_S6_PS5_21rocsparse_index_base_b,comdat
.Lfunc_end131:
	.size	_ZN9rocsparseL22gebsrmvn_mxn_16_kernelILj60ELj12ELj4E21rocsparse_complex_numIdEEEvi20rocsparse_direction_NS_24const_host_device_scalarIT2_EEPKiS8_PKS5_iiSA_S6_PS5_21rocsparse_index_base_b, .Lfunc_end131-_ZN9rocsparseL22gebsrmvn_mxn_16_kernelILj60ELj12ELj4E21rocsparse_complex_numIdEEEvi20rocsparse_direction_NS_24const_host_device_scalarIT2_EEPKiS8_PKS5_iiSA_S6_PS5_21rocsparse_index_base_b
                                        ; -- End function
	.set _ZN9rocsparseL22gebsrmvn_mxn_16_kernelILj60ELj12ELj4E21rocsparse_complex_numIdEEEvi20rocsparse_direction_NS_24const_host_device_scalarIT2_EEPKiS8_PKS5_iiSA_S6_PS5_21rocsparse_index_base_b.num_vgpr, 28
	.set _ZN9rocsparseL22gebsrmvn_mxn_16_kernelILj60ELj12ELj4E21rocsparse_complex_numIdEEEvi20rocsparse_direction_NS_24const_host_device_scalarIT2_EEPKiS8_PKS5_iiSA_S6_PS5_21rocsparse_index_base_b.num_agpr, 0
	.set _ZN9rocsparseL22gebsrmvn_mxn_16_kernelILj60ELj12ELj4E21rocsparse_complex_numIdEEEvi20rocsparse_direction_NS_24const_host_device_scalarIT2_EEPKiS8_PKS5_iiSA_S6_PS5_21rocsparse_index_base_b.numbered_sgpr, 18
	.set _ZN9rocsparseL22gebsrmvn_mxn_16_kernelILj60ELj12ELj4E21rocsparse_complex_numIdEEEvi20rocsparse_direction_NS_24const_host_device_scalarIT2_EEPKiS8_PKS5_iiSA_S6_PS5_21rocsparse_index_base_b.num_named_barrier, 0
	.set _ZN9rocsparseL22gebsrmvn_mxn_16_kernelILj60ELj12ELj4E21rocsparse_complex_numIdEEEvi20rocsparse_direction_NS_24const_host_device_scalarIT2_EEPKiS8_PKS5_iiSA_S6_PS5_21rocsparse_index_base_b.private_seg_size, 0
	.set _ZN9rocsparseL22gebsrmvn_mxn_16_kernelILj60ELj12ELj4E21rocsparse_complex_numIdEEEvi20rocsparse_direction_NS_24const_host_device_scalarIT2_EEPKiS8_PKS5_iiSA_S6_PS5_21rocsparse_index_base_b.uses_vcc, 1
	.set _ZN9rocsparseL22gebsrmvn_mxn_16_kernelILj60ELj12ELj4E21rocsparse_complex_numIdEEEvi20rocsparse_direction_NS_24const_host_device_scalarIT2_EEPKiS8_PKS5_iiSA_S6_PS5_21rocsparse_index_base_b.uses_flat_scratch, 0
	.set _ZN9rocsparseL22gebsrmvn_mxn_16_kernelILj60ELj12ELj4E21rocsparse_complex_numIdEEEvi20rocsparse_direction_NS_24const_host_device_scalarIT2_EEPKiS8_PKS5_iiSA_S6_PS5_21rocsparse_index_base_b.has_dyn_sized_stack, 0
	.set _ZN9rocsparseL22gebsrmvn_mxn_16_kernelILj60ELj12ELj4E21rocsparse_complex_numIdEEEvi20rocsparse_direction_NS_24const_host_device_scalarIT2_EEPKiS8_PKS5_iiSA_S6_PS5_21rocsparse_index_base_b.has_recursion, 0
	.set _ZN9rocsparseL22gebsrmvn_mxn_16_kernelILj60ELj12ELj4E21rocsparse_complex_numIdEEEvi20rocsparse_direction_NS_24const_host_device_scalarIT2_EEPKiS8_PKS5_iiSA_S6_PS5_21rocsparse_index_base_b.has_indirect_call, 0
	.section	.AMDGPU.csdata,"",@progbits
; Kernel info:
; codeLenInByte = 1128
; TotalNumSgprs: 22
; NumVgprs: 28
; ScratchSize: 0
; MemoryBound: 0
; FloatMode: 240
; IeeeMode: 1
; LDSByteSize: 768 bytes/workgroup (compile time only)
; SGPRBlocks: 2
; VGPRBlocks: 6
; NumSGPRsForWavesPerEU: 22
; NumVGPRsForWavesPerEU: 28
; Occupancy: 9
; WaveLimiterHint : 1
; COMPUTE_PGM_RSRC2:SCRATCH_EN: 0
; COMPUTE_PGM_RSRC2:USER_SGPR: 6
; COMPUTE_PGM_RSRC2:TRAP_HANDLER: 0
; COMPUTE_PGM_RSRC2:TGID_X_EN: 1
; COMPUTE_PGM_RSRC2:TGID_Y_EN: 0
; COMPUTE_PGM_RSRC2:TGID_Z_EN: 0
; COMPUTE_PGM_RSRC2:TIDIG_COMP_CNT: 0
	.section	.text._ZN9rocsparseL22gebsrmvn_mxn_16_kernelILj60ELj12ELj5E21rocsparse_complex_numIdEEEvi20rocsparse_direction_NS_24const_host_device_scalarIT2_EEPKiS8_PKS5_iiSA_S6_PS5_21rocsparse_index_base_b,"axG",@progbits,_ZN9rocsparseL22gebsrmvn_mxn_16_kernelILj60ELj12ELj5E21rocsparse_complex_numIdEEEvi20rocsparse_direction_NS_24const_host_device_scalarIT2_EEPKiS8_PKS5_iiSA_S6_PS5_21rocsparse_index_base_b,comdat
	.globl	_ZN9rocsparseL22gebsrmvn_mxn_16_kernelILj60ELj12ELj5E21rocsparse_complex_numIdEEEvi20rocsparse_direction_NS_24const_host_device_scalarIT2_EEPKiS8_PKS5_iiSA_S6_PS5_21rocsparse_index_base_b ; -- Begin function _ZN9rocsparseL22gebsrmvn_mxn_16_kernelILj60ELj12ELj5E21rocsparse_complex_numIdEEEvi20rocsparse_direction_NS_24const_host_device_scalarIT2_EEPKiS8_PKS5_iiSA_S6_PS5_21rocsparse_index_base_b
	.p2align	8
	.type	_ZN9rocsparseL22gebsrmvn_mxn_16_kernelILj60ELj12ELj5E21rocsparse_complex_numIdEEEvi20rocsparse_direction_NS_24const_host_device_scalarIT2_EEPKiS8_PKS5_iiSA_S6_PS5_21rocsparse_index_base_b,@function
_ZN9rocsparseL22gebsrmvn_mxn_16_kernelILj60ELj12ELj5E21rocsparse_complex_numIdEEEvi20rocsparse_direction_NS_24const_host_device_scalarIT2_EEPKiS8_PKS5_iiSA_S6_PS5_21rocsparse_index_base_b: ; @_ZN9rocsparseL22gebsrmvn_mxn_16_kernelILj60ELj12ELj5E21rocsparse_complex_numIdEEEvi20rocsparse_direction_NS_24const_host_device_scalarIT2_EEPKiS8_PKS5_iiSA_S6_PS5_21rocsparse_index_base_b
; %bb.0:
	s_load_dwordx2 s[0:1], s[4:5], 0x8
	s_load_dwordx2 s[2:3], s[4:5], 0x40
	;; [unrolled: 1-line block ×3, first 2 shown]
	s_add_u32 s7, s4, 8
	s_addc_u32 s8, s5, 0
	s_add_u32 s9, s4, 64
	s_addc_u32 s12, s5, 0
	s_waitcnt lgkmcnt(0)
	s_bitcmp1_b32 s11, 0
	s_cselect_b32 s1, s8, s1
	s_cselect_b32 s0, s7, s0
	v_mov_b32_e32 v1, s0
	v_mov_b32_e32 v2, s1
	flat_load_dwordx4 v[5:8], v[1:2]
	s_cselect_b32 s0, s12, s3
	s_cselect_b32 s1, s9, s2
	v_mov_b32_e32 v1, s1
	v_mov_b32_e32 v2, s0
	flat_load_dwordx4 v[1:4], v[1:2]
	s_waitcnt vmcnt(0) lgkmcnt(0)
	v_cmp_eq_f64_e32 vcc, 0, v[5:6]
	v_cmp_eq_f64_e64 s[0:1], 0, v[7:8]
	s_and_b64 s[8:9], vcc, s[0:1]
	s_mov_b64 s[0:1], -1
	s_and_saveexec_b64 s[2:3], s[8:9]
	s_cbranch_execz .LBB132_2
; %bb.1:
	v_cmp_neq_f64_e32 vcc, 1.0, v[1:2]
	v_cmp_neq_f64_e64 s[0:1], 0, v[3:4]
	s_or_b64 s[0:1], vcc, s[0:1]
	s_orn2_b64 s[0:1], s[0:1], exec
.LBB132_2:
	s_or_b64 exec, exec, s[2:3]
	s_and_saveexec_b64 s[2:3], s[0:1]
	s_cbranch_execz .LBB132_35
; %bb.3:
	s_load_dwordx2 s[0:1], s[4:5], 0x18
	s_load_dword s2, s[4:5], 0x4
	v_mul_u32_u24_e32 v10, 0x3334, v0
	v_mov_b32_e32 v9, 5
	v_mul_lo_u16_sdwa v10, v10, v9 dst_sel:DWORD dst_unused:UNUSED_PAD src0_sel:WORD_1 src1_sel:DWORD
	v_sub_u16_e32 v18, v0, v10
	s_waitcnt lgkmcnt(0)
	s_cmp_lg_u32 s2, 1
	s_cselect_b64 s[12:13], -1, 0
	s_and_b64 vcc, exec, s[12:13]
	v_mov_b32_e32 v13, v18
	s_cbranch_vccnz .LBB132_5
; %bb.4:
	s_movk_i32 s2, 0x1556
	v_mul_u32_u24_sdwa v10, v0, s2 dst_sel:DWORD dst_unused:UNUSED_PAD src0_sel:WORD_0 src1_sel:DWORD
	v_mov_b32_e32 v11, 52
	v_mul_lo_u16_sdwa v11, v10, v11 dst_sel:DWORD dst_unused:UNUSED_PAD src0_sel:WORD_1 src1_sel:DWORD
	v_mul_lo_u16_sdwa v9, v11, v9 dst_sel:DWORD dst_unused:UNUSED_PAD src0_sel:BYTE_1 src1_sel:DWORD
	v_sub_u16_sdwa v9, v10, v9 dst_sel:DWORD dst_unused:UNUSED_PAD src0_sel:WORD_1 src1_sel:DWORD
	v_and_b32_e32 v13, 0xff, v9
.LBB132_5:
	s_ashr_i32 s7, s6, 31
	s_lshl_b64 s[2:3], s[6:7], 2
	s_add_u32 s0, s0, s2
	s_addc_u32 s1, s1, s3
	s_load_dwordx2 s[16:17], s[0:1], 0x0
	s_load_dwordx2 s[8:9], s[4:5], 0x50
	v_mov_b32_e32 v11, 0
	v_mov_b32_e32 v9, 0
	;; [unrolled: 1-line block ×3, first 2 shown]
	s_waitcnt lgkmcnt(0)
	s_cmp_ge_i32 s16, s17
	v_mov_b32_e32 v10, 0
	s_cbranch_scc1 .LBB132_10
; %bb.6:
	s_load_dwordx4 s[0:3], s[4:5], 0x20
	s_load_dwordx2 s[14:15], s[4:5], 0x38
	v_mad_u64_u32 v[9:10], s[4:5], s16, 60, v[0:1]
	s_movk_i32 s4, 0x445
	v_mul_u32_u24_sdwa v19, v0, s4 dst_sel:DWORD dst_unused:UNUSED_PAD src0_sel:WORD_0 src1_sel:DWORD
	s_mul_i32 s4, s10, 60
	v_mov_b32_e32 v11, 0
	v_subrev_u32_e32 v14, s4, v9
	v_mov_b32_e32 v12, 0
	v_mov_b32_e32 v9, v11
	s_sub_i32 s7, s17, s10
	s_sub_i32 s11, s16, s10
	v_mov_b32_e32 v15, 0
	v_mov_b32_e32 v10, v12
	s_branch .LBB132_8
.LBB132_7:                              ;   in Loop: Header=BB132_8 Depth=1
	s_or_b64 exec, exec, s[4:5]
	s_add_i32 s11, s11, 1
	s_cmp_ge_i32 s11, s7
	v_add_u32_e32 v14, 60, v14
	s_cbranch_scc1 .LBB132_10
.LBB132_8:                              ; =>This Inner Loop Header: Depth=1
	v_add_u32_sdwa v16, v19, s11 dst_sel:DWORD dst_unused:UNUSED_PAD src0_sel:WORD_1 src1_sel:DWORD
	v_cmp_gt_i32_e32 vcc, s7, v16
	s_and_saveexec_b64 s[4:5], vcc
	s_cbranch_execz .LBB132_7
; %bb.9:                                ;   in Loop: Header=BB132_8 Depth=1
	v_ashrrev_i32_e32 v17, 31, v16
	v_lshlrev_b64 v[16:17], 2, v[16:17]
	s_waitcnt lgkmcnt(0)
	v_mov_b32_e32 v20, s1
	v_add_co_u32_e32 v16, vcc, s0, v16
	v_addc_co_u32_e32 v17, vcc, v20, v17, vcc
	global_load_dword v20, v[16:17], off
	v_lshlrev_b64 v[16:17], 4, v[14:15]
	v_mov_b32_e32 v21, s3
	v_add_co_u32_e32 v16, vcc, s2, v16
	v_addc_co_u32_e32 v17, vcc, v21, v17, vcc
	v_mov_b32_e32 v26, s15
	s_waitcnt vmcnt(0)
	v_subrev_u32_e32 v20, s10, v20
	v_mad_u64_u32 v[24:25], s[16:17], v20, 5, v[13:14]
	global_load_dwordx4 v[20:23], v[16:17], off
	v_ashrrev_i32_e32 v25, 31, v24
	v_lshlrev_b64 v[16:17], 4, v[24:25]
	v_add_co_u32_e32 v16, vcc, s14, v16
	v_addc_co_u32_e32 v17, vcc, v26, v17, vcc
	global_load_dwordx4 v[24:27], v[16:17], off
	s_waitcnt vmcnt(0)
	v_fma_f64 v[9:10], v[20:21], v[24:25], v[9:10]
	v_fma_f64 v[11:12], v[22:23], v[24:25], v[11:12]
	v_fma_f64 v[9:10], -v[22:23], v[26:27], v[9:10]
	v_fma_f64 v[11:12], v[20:21], v[26:27], v[11:12]
	s_branch .LBB132_7
.LBB132_10:
	v_lshlrev_b32_e32 v17, 4, v0
	s_and_b64 vcc, exec, s[12:13]
	ds_write_b128 v17, v[9:12]
	s_waitcnt lgkmcnt(0)
	; wave barrier
	s_cbranch_vccz .LBB132_20
; %bb.11:
	v_cmp_eq_u16_e32 vcc, 0, v18
	s_and_saveexec_b64 s[0:1], vcc
	s_cbranch_execz .LBB132_13
; %bb.12:
	ds_read_b128 v[13:16], v17 offset:64
	ds_read_b128 v[19:22], v17
	s_waitcnt lgkmcnt(0)
	v_add_f64 v[13:14], v[13:14], v[19:20]
	v_add_f64 v[15:16], v[15:16], v[21:22]
	ds_write_b128 v17, v[13:16]
.LBB132_13:
	s_or_b64 exec, exec, s[0:1]
	v_cmp_gt_u16_e64 s[0:1], 2, v18
	s_waitcnt lgkmcnt(0)
	; wave barrier
	s_and_saveexec_b64 s[2:3], s[0:1]
	s_cbranch_execz .LBB132_15
; %bb.14:
	ds_read_b128 v[13:16], v17
	ds_read_b128 v[18:21], v17 offset:32
	s_waitcnt lgkmcnt(0)
	v_add_f64 v[13:14], v[18:19], v[13:14]
	v_add_f64 v[15:16], v[20:21], v[15:16]
	ds_write_b128 v17, v[13:16]
.LBB132_15:
	s_or_b64 exec, exec, s[2:3]
	s_waitcnt lgkmcnt(0)
	; wave barrier
	s_and_saveexec_b64 s[0:1], vcc
	s_cbranch_execz .LBB132_17
; %bb.16:
	ds_read_b128 v[13:16], v17
	ds_read_b128 v[18:21], v17 offset:16
	s_waitcnt lgkmcnt(0)
	v_add_f64 v[13:14], v[18:19], v[13:14]
	v_add_f64 v[15:16], v[20:21], v[15:16]
	ds_write_b128 v17, v[13:16]
.LBB132_17:
	s_or_b64 exec, exec, s[0:1]
	v_mov_b32_e32 v16, v12
	v_mov_b32_e32 v14, v10
	v_cmp_gt_u32_e32 vcc, 12, v0
	v_mov_b32_e32 v15, v11
	v_mov_b32_e32 v13, v9
	s_waitcnt lgkmcnt(0)
	; wave barrier
	s_and_saveexec_b64 s[0:1], vcc
; %bb.18:
	v_lshl_add_u32 v13, v0, 6, v17
	ds_read_b128 v[13:16], v13
; %bb.19:
	s_or_b64 exec, exec, s[0:1]
	v_cmp_gt_u32_e64 s[0:1], 12, v0
	s_branch .LBB132_30
.LBB132_20:
                                        ; implicit-def: $vgpr15_vgpr16
	v_cmp_gt_u32_e64 s[0:1], 12, v0
	s_cbranch_execz .LBB132_30
; %bb.21:
	v_cmp_lt_u32_e32 vcc, 11, v0
	s_and_saveexec_b64 s[2:3], s[0:1]
	s_cbranch_execz .LBB132_23
; %bb.22:
	s_waitcnt lgkmcnt(0)
	ds_read_b128 v[13:16], v17 offset:768
	ds_read_b128 v[18:21], v17
	s_waitcnt lgkmcnt(0)
	v_add_f64 v[13:14], v[13:14], v[18:19]
	v_add_f64 v[15:16], v[15:16], v[20:21]
	ds_write_b128 v17, v[13:16]
.LBB132_23:
	s_or_b64 exec, exec, s[2:3]
	v_cmp_gt_u32_e64 s[0:1], 24, v0
	s_waitcnt lgkmcnt(0)
	; wave barrier
	s_and_saveexec_b64 s[2:3], s[0:1]
	s_cbranch_execz .LBB132_25
; %bb.24:
	ds_read_b128 v[13:16], v17 offset:384
	ds_read_b128 v[18:21], v17
	s_waitcnt lgkmcnt(0)
	v_add_f64 v[13:14], v[13:14], v[18:19]
	v_add_f64 v[15:16], v[15:16], v[20:21]
	ds_write_b128 v17, v[13:16]
.LBB132_25:
	s_or_b64 exec, exec, s[2:3]
	s_waitcnt lgkmcnt(0)
	s_and_saveexec_b64 s[0:1], vcc
	s_xor_b64 s[0:1], exec, s[0:1]
; %bb.26:
                                        ; implicit-def: $vgpr17
; %bb.27:
	s_andn2_saveexec_b64 s[0:1], s[0:1]
	s_cbranch_execz .LBB132_29
; %bb.28:
	ds_read_b128 v[9:12], v17 offset:192
	ds_read_b128 v[13:16], v17
	s_waitcnt lgkmcnt(0)
	v_add_f64 v[9:10], v[9:10], v[13:14]
	v_add_f64 v[11:12], v[11:12], v[15:16]
	ds_write_b128 v17, v[9:12]
	s_waitcnt lgkmcnt(0)
	ds_read_b128 v[9:12], v17
.LBB132_29:
	s_or_b64 exec, exec, s[0:1]
	s_waitcnt lgkmcnt(0)
	v_mov_b32_e32 v16, v12
	v_mov_b32_e32 v14, v10
	v_mov_b32_e32 v15, v11
	v_mov_b32_e32 v13, v9
.LBB132_30:
	v_cmp_gt_u32_e32 vcc, 12, v0
	s_and_b64 exec, exec, vcc
	s_cbranch_execz .LBB132_35
; %bb.31:
	s_waitcnt lgkmcnt(0)
	v_mul_f64 v[9:10], v[15:16], -v[7:8]
	v_mul_f64 v[11:12], v[5:6], v[15:16]
	v_cmp_eq_f64_e32 vcc, 0, v[1:2]
	v_cmp_eq_f64_e64 s[0:1], 0, v[3:4]
	v_fma_f64 v[5:6], v[5:6], v[13:14], v[9:10]
	v_fma_f64 v[7:8], v[7:8], v[13:14], v[11:12]
	s_and_b64 s[0:1], vcc, s[0:1]
	s_and_saveexec_b64 s[2:3], s[0:1]
	s_xor_b64 s[0:1], exec, s[2:3]
	s_cbranch_execz .LBB132_33
; %bb.32:
	v_mad_u64_u32 v[0:1], s[2:3], s6, 12, v[0:1]
	v_mov_b32_e32 v1, 0
	v_mov_b32_e32 v2, s9
	v_lshlrev_b64 v[0:1], 4, v[0:1]
	v_add_co_u32_e32 v0, vcc, s8, v0
	v_addc_co_u32_e32 v1, vcc, v2, v1, vcc
	global_store_dwordx4 v[0:1], v[5:8], off
                                        ; implicit-def: $vgpr0
                                        ; implicit-def: $vgpr1_vgpr2
                                        ; implicit-def: $vgpr5_vgpr6
.LBB132_33:
	s_andn2_saveexec_b64 s[0:1], s[0:1]
	s_cbranch_execz .LBB132_35
; %bb.34:
	v_mad_u64_u32 v[9:10], s[0:1], s6, 12, v[0:1]
	v_mov_b32_e32 v10, 0
	v_mov_b32_e32 v0, s9
	v_lshlrev_b64 v[9:10], 4, v[9:10]
	v_add_co_u32_e32 v13, vcc, s8, v9
	v_addc_co_u32_e32 v14, vcc, v0, v10, vcc
	global_load_dwordx4 v[9:12], v[13:14], off
	s_waitcnt vmcnt(0)
	v_fma_f64 v[5:6], v[1:2], v[9:10], v[5:6]
	v_fma_f64 v[7:8], v[3:4], v[9:10], v[7:8]
	v_fma_f64 v[3:4], -v[3:4], v[11:12], v[5:6]
	v_fma_f64 v[5:6], v[1:2], v[11:12], v[7:8]
	global_store_dwordx4 v[13:14], v[3:6], off
.LBB132_35:
	s_endpgm
	.section	.rodata,"a",@progbits
	.p2align	6, 0x0
	.amdhsa_kernel _ZN9rocsparseL22gebsrmvn_mxn_16_kernelILj60ELj12ELj5E21rocsparse_complex_numIdEEEvi20rocsparse_direction_NS_24const_host_device_scalarIT2_EEPKiS8_PKS5_iiSA_S6_PS5_21rocsparse_index_base_b
		.amdhsa_group_segment_fixed_size 960
		.amdhsa_private_segment_fixed_size 0
		.amdhsa_kernarg_size 96
		.amdhsa_user_sgpr_count 6
		.amdhsa_user_sgpr_private_segment_buffer 1
		.amdhsa_user_sgpr_dispatch_ptr 0
		.amdhsa_user_sgpr_queue_ptr 0
		.amdhsa_user_sgpr_kernarg_segment_ptr 1
		.amdhsa_user_sgpr_dispatch_id 0
		.amdhsa_user_sgpr_flat_scratch_init 0
		.amdhsa_user_sgpr_private_segment_size 0
		.amdhsa_uses_dynamic_stack 0
		.amdhsa_system_sgpr_private_segment_wavefront_offset 0
		.amdhsa_system_sgpr_workgroup_id_x 1
		.amdhsa_system_sgpr_workgroup_id_y 0
		.amdhsa_system_sgpr_workgroup_id_z 0
		.amdhsa_system_sgpr_workgroup_info 0
		.amdhsa_system_vgpr_workitem_id 0
		.amdhsa_next_free_vgpr 28
		.amdhsa_next_free_sgpr 18
		.amdhsa_reserve_vcc 1
		.amdhsa_reserve_flat_scratch 0
		.amdhsa_float_round_mode_32 0
		.amdhsa_float_round_mode_16_64 0
		.amdhsa_float_denorm_mode_32 3
		.amdhsa_float_denorm_mode_16_64 3
		.amdhsa_dx10_clamp 1
		.amdhsa_ieee_mode 1
		.amdhsa_fp16_overflow 0
		.amdhsa_exception_fp_ieee_invalid_op 0
		.amdhsa_exception_fp_denorm_src 0
		.amdhsa_exception_fp_ieee_div_zero 0
		.amdhsa_exception_fp_ieee_overflow 0
		.amdhsa_exception_fp_ieee_underflow 0
		.amdhsa_exception_fp_ieee_inexact 0
		.amdhsa_exception_int_div_zero 0
	.end_amdhsa_kernel
	.section	.text._ZN9rocsparseL22gebsrmvn_mxn_16_kernelILj60ELj12ELj5E21rocsparse_complex_numIdEEEvi20rocsparse_direction_NS_24const_host_device_scalarIT2_EEPKiS8_PKS5_iiSA_S6_PS5_21rocsparse_index_base_b,"axG",@progbits,_ZN9rocsparseL22gebsrmvn_mxn_16_kernelILj60ELj12ELj5E21rocsparse_complex_numIdEEEvi20rocsparse_direction_NS_24const_host_device_scalarIT2_EEPKiS8_PKS5_iiSA_S6_PS5_21rocsparse_index_base_b,comdat
.Lfunc_end132:
	.size	_ZN9rocsparseL22gebsrmvn_mxn_16_kernelILj60ELj12ELj5E21rocsparse_complex_numIdEEEvi20rocsparse_direction_NS_24const_host_device_scalarIT2_EEPKiS8_PKS5_iiSA_S6_PS5_21rocsparse_index_base_b, .Lfunc_end132-_ZN9rocsparseL22gebsrmvn_mxn_16_kernelILj60ELj12ELj5E21rocsparse_complex_numIdEEEvi20rocsparse_direction_NS_24const_host_device_scalarIT2_EEPKiS8_PKS5_iiSA_S6_PS5_21rocsparse_index_base_b
                                        ; -- End function
	.set _ZN9rocsparseL22gebsrmvn_mxn_16_kernelILj60ELj12ELj5E21rocsparse_complex_numIdEEEvi20rocsparse_direction_NS_24const_host_device_scalarIT2_EEPKiS8_PKS5_iiSA_S6_PS5_21rocsparse_index_base_b.num_vgpr, 28
	.set _ZN9rocsparseL22gebsrmvn_mxn_16_kernelILj60ELj12ELj5E21rocsparse_complex_numIdEEEvi20rocsparse_direction_NS_24const_host_device_scalarIT2_EEPKiS8_PKS5_iiSA_S6_PS5_21rocsparse_index_base_b.num_agpr, 0
	.set _ZN9rocsparseL22gebsrmvn_mxn_16_kernelILj60ELj12ELj5E21rocsparse_complex_numIdEEEvi20rocsparse_direction_NS_24const_host_device_scalarIT2_EEPKiS8_PKS5_iiSA_S6_PS5_21rocsparse_index_base_b.numbered_sgpr, 18
	.set _ZN9rocsparseL22gebsrmvn_mxn_16_kernelILj60ELj12ELj5E21rocsparse_complex_numIdEEEvi20rocsparse_direction_NS_24const_host_device_scalarIT2_EEPKiS8_PKS5_iiSA_S6_PS5_21rocsparse_index_base_b.num_named_barrier, 0
	.set _ZN9rocsparseL22gebsrmvn_mxn_16_kernelILj60ELj12ELj5E21rocsparse_complex_numIdEEEvi20rocsparse_direction_NS_24const_host_device_scalarIT2_EEPKiS8_PKS5_iiSA_S6_PS5_21rocsparse_index_base_b.private_seg_size, 0
	.set _ZN9rocsparseL22gebsrmvn_mxn_16_kernelILj60ELj12ELj5E21rocsparse_complex_numIdEEEvi20rocsparse_direction_NS_24const_host_device_scalarIT2_EEPKiS8_PKS5_iiSA_S6_PS5_21rocsparse_index_base_b.uses_vcc, 1
	.set _ZN9rocsparseL22gebsrmvn_mxn_16_kernelILj60ELj12ELj5E21rocsparse_complex_numIdEEEvi20rocsparse_direction_NS_24const_host_device_scalarIT2_EEPKiS8_PKS5_iiSA_S6_PS5_21rocsparse_index_base_b.uses_flat_scratch, 0
	.set _ZN9rocsparseL22gebsrmvn_mxn_16_kernelILj60ELj12ELj5E21rocsparse_complex_numIdEEEvi20rocsparse_direction_NS_24const_host_device_scalarIT2_EEPKiS8_PKS5_iiSA_S6_PS5_21rocsparse_index_base_b.has_dyn_sized_stack, 0
	.set _ZN9rocsparseL22gebsrmvn_mxn_16_kernelILj60ELj12ELj5E21rocsparse_complex_numIdEEEvi20rocsparse_direction_NS_24const_host_device_scalarIT2_EEPKiS8_PKS5_iiSA_S6_PS5_21rocsparse_index_base_b.has_recursion, 0
	.set _ZN9rocsparseL22gebsrmvn_mxn_16_kernelILj60ELj12ELj5E21rocsparse_complex_numIdEEEvi20rocsparse_direction_NS_24const_host_device_scalarIT2_EEPKiS8_PKS5_iiSA_S6_PS5_21rocsparse_index_base_b.has_indirect_call, 0
	.section	.AMDGPU.csdata,"",@progbits
; Kernel info:
; codeLenInByte = 1328
; TotalNumSgprs: 22
; NumVgprs: 28
; ScratchSize: 0
; MemoryBound: 0
; FloatMode: 240
; IeeeMode: 1
; LDSByteSize: 960 bytes/workgroup (compile time only)
; SGPRBlocks: 2
; VGPRBlocks: 6
; NumSGPRsForWavesPerEU: 22
; NumVGPRsForWavesPerEU: 28
; Occupancy: 9
; WaveLimiterHint : 1
; COMPUTE_PGM_RSRC2:SCRATCH_EN: 0
; COMPUTE_PGM_RSRC2:USER_SGPR: 6
; COMPUTE_PGM_RSRC2:TRAP_HANDLER: 0
; COMPUTE_PGM_RSRC2:TGID_X_EN: 1
; COMPUTE_PGM_RSRC2:TGID_Y_EN: 0
; COMPUTE_PGM_RSRC2:TGID_Z_EN: 0
; COMPUTE_PGM_RSRC2:TIDIG_COMP_CNT: 0
	.section	.text._ZN9rocsparseL22gebsrmvn_mxn_16_kernelILj72ELj12ELj6E21rocsparse_complex_numIdEEEvi20rocsparse_direction_NS_24const_host_device_scalarIT2_EEPKiS8_PKS5_iiSA_S6_PS5_21rocsparse_index_base_b,"axG",@progbits,_ZN9rocsparseL22gebsrmvn_mxn_16_kernelILj72ELj12ELj6E21rocsparse_complex_numIdEEEvi20rocsparse_direction_NS_24const_host_device_scalarIT2_EEPKiS8_PKS5_iiSA_S6_PS5_21rocsparse_index_base_b,comdat
	.globl	_ZN9rocsparseL22gebsrmvn_mxn_16_kernelILj72ELj12ELj6E21rocsparse_complex_numIdEEEvi20rocsparse_direction_NS_24const_host_device_scalarIT2_EEPKiS8_PKS5_iiSA_S6_PS5_21rocsparse_index_base_b ; -- Begin function _ZN9rocsparseL22gebsrmvn_mxn_16_kernelILj72ELj12ELj6E21rocsparse_complex_numIdEEEvi20rocsparse_direction_NS_24const_host_device_scalarIT2_EEPKiS8_PKS5_iiSA_S6_PS5_21rocsparse_index_base_b
	.p2align	8
	.type	_ZN9rocsparseL22gebsrmvn_mxn_16_kernelILj72ELj12ELj6E21rocsparse_complex_numIdEEEvi20rocsparse_direction_NS_24const_host_device_scalarIT2_EEPKiS8_PKS5_iiSA_S6_PS5_21rocsparse_index_base_b,@function
_ZN9rocsparseL22gebsrmvn_mxn_16_kernelILj72ELj12ELj6E21rocsparse_complex_numIdEEEvi20rocsparse_direction_NS_24const_host_device_scalarIT2_EEPKiS8_PKS5_iiSA_S6_PS5_21rocsparse_index_base_b: ; @_ZN9rocsparseL22gebsrmvn_mxn_16_kernelILj72ELj12ELj6E21rocsparse_complex_numIdEEEvi20rocsparse_direction_NS_24const_host_device_scalarIT2_EEPKiS8_PKS5_iiSA_S6_PS5_21rocsparse_index_base_b
; %bb.0:
	s_load_dwordx2 s[0:1], s[4:5], 0x8
	s_load_dwordx2 s[2:3], s[4:5], 0x40
	;; [unrolled: 1-line block ×3, first 2 shown]
	s_add_u32 s7, s4, 8
	s_addc_u32 s8, s5, 0
	s_add_u32 s9, s4, 64
	s_addc_u32 s12, s5, 0
	s_waitcnt lgkmcnt(0)
	s_bitcmp1_b32 s11, 0
	s_cselect_b32 s1, s8, s1
	s_cselect_b32 s0, s7, s0
	v_mov_b32_e32 v1, s0
	v_mov_b32_e32 v2, s1
	flat_load_dwordx4 v[5:8], v[1:2]
	s_cselect_b32 s0, s12, s3
	s_cselect_b32 s1, s9, s2
	v_mov_b32_e32 v1, s1
	v_mov_b32_e32 v2, s0
	flat_load_dwordx4 v[1:4], v[1:2]
	s_waitcnt vmcnt(0) lgkmcnt(0)
	v_cmp_eq_f64_e32 vcc, 0, v[5:6]
	v_cmp_eq_f64_e64 s[0:1], 0, v[7:8]
	s_and_b64 s[8:9], vcc, s[0:1]
	s_mov_b64 s[0:1], -1
	s_and_saveexec_b64 s[2:3], s[8:9]
	s_cbranch_execz .LBB133_2
; %bb.1:
	v_cmp_neq_f64_e32 vcc, 1.0, v[1:2]
	v_cmp_neq_f64_e64 s[0:1], 0, v[3:4]
	s_or_b64 s[0:1], vcc, s[0:1]
	s_orn2_b64 s[0:1], s[0:1], exec
.LBB133_2:
	s_or_b64 exec, exec, s[2:3]
	s_and_saveexec_b64 s[2:3], s[0:1]
	s_cbranch_execz .LBB133_35
; %bb.3:
	s_load_dwordx2 s[0:1], s[4:5], 0x18
	s_load_dword s2, s[4:5], 0x4
	v_mul_u32_u24_e32 v10, 0x2aab, v0
	v_mov_b32_e32 v9, 6
	v_mul_lo_u16_sdwa v10, v10, v9 dst_sel:DWORD dst_unused:UNUSED_PAD src0_sel:WORD_1 src1_sel:DWORD
	v_sub_u16_e32 v18, v0, v10
	s_waitcnt lgkmcnt(0)
	s_cmp_lg_u32 s2, 1
	s_cselect_b64 s[12:13], -1, 0
	s_and_b64 vcc, exec, s[12:13]
	v_mov_b32_e32 v13, v18
	s_cbranch_vccnz .LBB133_5
; %bb.4:
	s_movk_i32 s2, 0x1556
	v_mul_u32_u24_sdwa v10, v0, s2 dst_sel:DWORD dst_unused:UNUSED_PAD src0_sel:WORD_0 src1_sel:DWORD
	v_mov_b32_e32 v11, 43
	v_mul_lo_u16_sdwa v11, v10, v11 dst_sel:DWORD dst_unused:UNUSED_PAD src0_sel:WORD_1 src1_sel:DWORD
	v_mul_lo_u16_sdwa v9, v11, v9 dst_sel:DWORD dst_unused:UNUSED_PAD src0_sel:BYTE_1 src1_sel:DWORD
	v_sub_u16_sdwa v9, v10, v9 dst_sel:DWORD dst_unused:UNUSED_PAD src0_sel:WORD_1 src1_sel:DWORD
	v_and_b32_e32 v13, 0xff, v9
.LBB133_5:
	s_ashr_i32 s7, s6, 31
	s_lshl_b64 s[2:3], s[6:7], 2
	s_add_u32 s0, s0, s2
	s_addc_u32 s1, s1, s3
	s_load_dwordx2 s[16:17], s[0:1], 0x0
	s_load_dwordx2 s[8:9], s[4:5], 0x50
	v_mov_b32_e32 v11, 0
	v_mov_b32_e32 v9, 0
	;; [unrolled: 1-line block ×3, first 2 shown]
	s_waitcnt lgkmcnt(0)
	s_cmp_ge_i32 s16, s17
	v_mov_b32_e32 v10, 0
	s_cbranch_scc1 .LBB133_10
; %bb.6:
	s_load_dwordx4 s[0:3], s[4:5], 0x20
	s_load_dwordx2 s[14:15], s[4:5], 0x38
	s_movk_i32 s4, 0x38f
	v_mul_u32_u24_sdwa v19, v0, s4 dst_sel:DWORD dst_unused:UNUSED_PAD src0_sel:WORD_0 src1_sel:DWORD
	s_mul_i32 s4, s16, 0x48
	v_add_u32_e32 v9, s4, v0
	s_mul_i32 s4, s10, 0x48
	v_mov_b32_e32 v11, 0
	v_subrev_u32_e32 v14, s4, v9
	v_mov_b32_e32 v12, 0
	v_mov_b32_e32 v9, v11
	s_sub_i32 s7, s17, s10
	s_sub_i32 s11, s16, s10
	v_mov_b32_e32 v15, 0
	v_mov_b32_e32 v10, v12
	s_branch .LBB133_8
.LBB133_7:                              ;   in Loop: Header=BB133_8 Depth=1
	s_or_b64 exec, exec, s[4:5]
	s_add_i32 s11, s11, 1
	s_cmp_ge_i32 s11, s7
	v_add_u32_e32 v14, 0x48, v14
	s_cbranch_scc1 .LBB133_10
.LBB133_8:                              ; =>This Inner Loop Header: Depth=1
	v_add_u32_sdwa v16, v19, s11 dst_sel:DWORD dst_unused:UNUSED_PAD src0_sel:WORD_1 src1_sel:DWORD
	v_cmp_gt_i32_e32 vcc, s7, v16
	s_and_saveexec_b64 s[4:5], vcc
	s_cbranch_execz .LBB133_7
; %bb.9:                                ;   in Loop: Header=BB133_8 Depth=1
	v_ashrrev_i32_e32 v17, 31, v16
	v_lshlrev_b64 v[16:17], 2, v[16:17]
	s_waitcnt lgkmcnt(0)
	v_mov_b32_e32 v20, s1
	v_add_co_u32_e32 v16, vcc, s0, v16
	v_addc_co_u32_e32 v17, vcc, v20, v17, vcc
	global_load_dword v20, v[16:17], off
	v_lshlrev_b64 v[16:17], 4, v[14:15]
	v_mov_b32_e32 v21, s3
	v_add_co_u32_e32 v16, vcc, s2, v16
	v_addc_co_u32_e32 v17, vcc, v21, v17, vcc
	v_mov_b32_e32 v26, s15
	s_waitcnt vmcnt(0)
	v_subrev_u32_e32 v20, s10, v20
	v_mad_u64_u32 v[24:25], s[16:17], v20, 6, v[13:14]
	global_load_dwordx4 v[20:23], v[16:17], off
	v_ashrrev_i32_e32 v25, 31, v24
	v_lshlrev_b64 v[16:17], 4, v[24:25]
	v_add_co_u32_e32 v16, vcc, s14, v16
	v_addc_co_u32_e32 v17, vcc, v26, v17, vcc
	global_load_dwordx4 v[24:27], v[16:17], off
	s_waitcnt vmcnt(0)
	v_fma_f64 v[9:10], v[20:21], v[24:25], v[9:10]
	v_fma_f64 v[11:12], v[22:23], v[24:25], v[11:12]
	v_fma_f64 v[9:10], -v[22:23], v[26:27], v[9:10]
	v_fma_f64 v[11:12], v[20:21], v[26:27], v[11:12]
	s_branch .LBB133_7
.LBB133_10:
	v_lshlrev_b32_e32 v17, 4, v0
	s_and_b64 vcc, exec, s[12:13]
	ds_write_b128 v17, v[9:12]
	s_waitcnt lgkmcnt(0)
	s_barrier
	s_cbranch_vccz .LBB133_20
; %bb.11:
	v_cmp_gt_u16_e32 vcc, 2, v18
	s_and_saveexec_b64 s[0:1], vcc
	s_cbranch_execz .LBB133_13
; %bb.12:
	ds_read_b128 v[13:16], v17 offset:64
	ds_read_b128 v[19:22], v17
	s_waitcnt lgkmcnt(0)
	v_add_f64 v[13:14], v[13:14], v[19:20]
	v_add_f64 v[15:16], v[15:16], v[21:22]
	ds_write_b128 v17, v[13:16]
.LBB133_13:
	s_or_b64 exec, exec, s[0:1]
	s_waitcnt lgkmcnt(0)
	s_barrier
	s_and_saveexec_b64 s[0:1], vcc
	s_cbranch_execz .LBB133_15
; %bb.14:
	ds_read_b128 v[13:16], v17
	ds_read_b128 v[19:22], v17 offset:32
	s_waitcnt lgkmcnt(0)
	v_add_f64 v[13:14], v[19:20], v[13:14]
	v_add_f64 v[15:16], v[21:22], v[15:16]
	ds_write_b128 v17, v[13:16]
.LBB133_15:
	s_or_b64 exec, exec, s[0:1]
	v_cmp_eq_u16_e32 vcc, 0, v18
	s_waitcnt lgkmcnt(0)
	s_barrier
	s_and_saveexec_b64 s[0:1], vcc
	s_cbranch_execz .LBB133_17
; %bb.16:
	ds_read_b128 v[13:16], v17
	ds_read_b128 v[18:21], v17 offset:16
	s_waitcnt lgkmcnt(0)
	v_add_f64 v[13:14], v[18:19], v[13:14]
	v_add_f64 v[15:16], v[20:21], v[15:16]
	ds_write_b128 v17, v[13:16]
.LBB133_17:
	s_or_b64 exec, exec, s[0:1]
	v_mov_b32_e32 v16, v12
	v_mov_b32_e32 v14, v10
	v_cmp_gt_u32_e32 vcc, 12, v0
	v_mov_b32_e32 v15, v11
	v_mov_b32_e32 v13, v9
	s_waitcnt lgkmcnt(0)
	s_barrier
	s_and_saveexec_b64 s[0:1], vcc
; %bb.18:
	s_movk_i32 s2, 0x50
	v_mad_u32_u24 v13, v0, s2, v17
	ds_read_b128 v[13:16], v13
; %bb.19:
	s_or_b64 exec, exec, s[0:1]
	s_branch .LBB133_30
.LBB133_20:
                                        ; implicit-def: $vgpr15_vgpr16
	s_cbranch_execz .LBB133_30
; %bb.21:
	v_cmp_gt_u32_e32 vcc, 24, v0
	s_and_saveexec_b64 s[0:1], vcc
	s_cbranch_execz .LBB133_23
; %bb.22:
	s_waitcnt lgkmcnt(0)
	ds_read_b128 v[13:16], v17 offset:768
	ds_read_b128 v[18:21], v17
	s_waitcnt lgkmcnt(0)
	v_add_f64 v[13:14], v[13:14], v[18:19]
	v_add_f64 v[15:16], v[15:16], v[20:21]
	ds_write_b128 v17, v[13:16]
.LBB133_23:
	s_or_b64 exec, exec, s[0:1]
	s_waitcnt lgkmcnt(0)
	s_barrier
	s_and_saveexec_b64 s[0:1], vcc
	s_cbranch_execz .LBB133_25
; %bb.24:
	ds_read_b128 v[13:16], v17 offset:384
	ds_read_b128 v[18:21], v17
	s_waitcnt lgkmcnt(0)
	v_add_f64 v[13:14], v[13:14], v[18:19]
	v_add_f64 v[15:16], v[15:16], v[20:21]
	ds_write_b128 v17, v[13:16]
.LBB133_25:
	s_or_b64 exec, exec, s[0:1]
	v_cmp_lt_u32_e32 vcc, 11, v0
	s_waitcnt lgkmcnt(0)
	s_and_saveexec_b64 s[0:1], vcc
	s_xor_b64 s[0:1], exec, s[0:1]
; %bb.26:
                                        ; implicit-def: $vgpr17
; %bb.27:
	s_andn2_saveexec_b64 s[0:1], s[0:1]
	s_cbranch_execz .LBB133_29
; %bb.28:
	ds_read_b128 v[9:12], v17 offset:192
	ds_read_b128 v[13:16], v17
	s_waitcnt lgkmcnt(0)
	v_add_f64 v[9:10], v[9:10], v[13:14]
	v_add_f64 v[11:12], v[11:12], v[15:16]
	ds_write_b128 v17, v[9:12]
	s_waitcnt lgkmcnt(0)
	ds_read_b128 v[9:12], v17
.LBB133_29:
	s_or_b64 exec, exec, s[0:1]
	s_waitcnt lgkmcnt(0)
	v_mov_b32_e32 v16, v12
	v_mov_b32_e32 v14, v10
	;; [unrolled: 1-line block ×4, first 2 shown]
.LBB133_30:
	v_cmp_gt_u32_e32 vcc, 12, v0
	s_and_b64 exec, exec, vcc
	s_cbranch_execz .LBB133_35
; %bb.31:
	s_waitcnt lgkmcnt(0)
	v_mul_f64 v[9:10], v[15:16], -v[7:8]
	v_mul_f64 v[11:12], v[5:6], v[15:16]
	v_cmp_eq_f64_e32 vcc, 0, v[1:2]
	v_cmp_eq_f64_e64 s[0:1], 0, v[3:4]
	v_fma_f64 v[5:6], v[5:6], v[13:14], v[9:10]
	v_fma_f64 v[7:8], v[7:8], v[13:14], v[11:12]
	s_and_b64 s[0:1], vcc, s[0:1]
	s_and_saveexec_b64 s[2:3], s[0:1]
	s_xor_b64 s[0:1], exec, s[2:3]
	s_cbranch_execz .LBB133_33
; %bb.32:
	v_mad_u64_u32 v[0:1], s[2:3], s6, 12, v[0:1]
	v_mov_b32_e32 v1, 0
	v_mov_b32_e32 v2, s9
	v_lshlrev_b64 v[0:1], 4, v[0:1]
	v_add_co_u32_e32 v0, vcc, s8, v0
	v_addc_co_u32_e32 v1, vcc, v2, v1, vcc
	global_store_dwordx4 v[0:1], v[5:8], off
                                        ; implicit-def: $vgpr0
                                        ; implicit-def: $vgpr1_vgpr2
                                        ; implicit-def: $vgpr5_vgpr6
.LBB133_33:
	s_andn2_saveexec_b64 s[0:1], s[0:1]
	s_cbranch_execz .LBB133_35
; %bb.34:
	v_mad_u64_u32 v[9:10], s[0:1], s6, 12, v[0:1]
	v_mov_b32_e32 v10, 0
	v_mov_b32_e32 v0, s9
	v_lshlrev_b64 v[9:10], 4, v[9:10]
	v_add_co_u32_e32 v13, vcc, s8, v9
	v_addc_co_u32_e32 v14, vcc, v0, v10, vcc
	global_load_dwordx4 v[9:12], v[13:14], off
	s_waitcnt vmcnt(0)
	v_fma_f64 v[5:6], v[1:2], v[9:10], v[5:6]
	v_fma_f64 v[7:8], v[3:4], v[9:10], v[7:8]
	v_fma_f64 v[3:4], -v[3:4], v[11:12], v[5:6]
	v_fma_f64 v[5:6], v[1:2], v[11:12], v[7:8]
	global_store_dwordx4 v[13:14], v[3:6], off
.LBB133_35:
	s_endpgm
	.section	.rodata,"a",@progbits
	.p2align	6, 0x0
	.amdhsa_kernel _ZN9rocsparseL22gebsrmvn_mxn_16_kernelILj72ELj12ELj6E21rocsparse_complex_numIdEEEvi20rocsparse_direction_NS_24const_host_device_scalarIT2_EEPKiS8_PKS5_iiSA_S6_PS5_21rocsparse_index_base_b
		.amdhsa_group_segment_fixed_size 1152
		.amdhsa_private_segment_fixed_size 0
		.amdhsa_kernarg_size 96
		.amdhsa_user_sgpr_count 6
		.amdhsa_user_sgpr_private_segment_buffer 1
		.amdhsa_user_sgpr_dispatch_ptr 0
		.amdhsa_user_sgpr_queue_ptr 0
		.amdhsa_user_sgpr_kernarg_segment_ptr 1
		.amdhsa_user_sgpr_dispatch_id 0
		.amdhsa_user_sgpr_flat_scratch_init 0
		.amdhsa_user_sgpr_private_segment_size 0
		.amdhsa_uses_dynamic_stack 0
		.amdhsa_system_sgpr_private_segment_wavefront_offset 0
		.amdhsa_system_sgpr_workgroup_id_x 1
		.amdhsa_system_sgpr_workgroup_id_y 0
		.amdhsa_system_sgpr_workgroup_id_z 0
		.amdhsa_system_sgpr_workgroup_info 0
		.amdhsa_system_vgpr_workitem_id 0
		.amdhsa_next_free_vgpr 28
		.amdhsa_next_free_sgpr 18
		.amdhsa_reserve_vcc 1
		.amdhsa_reserve_flat_scratch 0
		.amdhsa_float_round_mode_32 0
		.amdhsa_float_round_mode_16_64 0
		.amdhsa_float_denorm_mode_32 3
		.amdhsa_float_denorm_mode_16_64 3
		.amdhsa_dx10_clamp 1
		.amdhsa_ieee_mode 1
		.amdhsa_fp16_overflow 0
		.amdhsa_exception_fp_ieee_invalid_op 0
		.amdhsa_exception_fp_denorm_src 0
		.amdhsa_exception_fp_ieee_div_zero 0
		.amdhsa_exception_fp_ieee_overflow 0
		.amdhsa_exception_fp_ieee_underflow 0
		.amdhsa_exception_fp_ieee_inexact 0
		.amdhsa_exception_int_div_zero 0
	.end_amdhsa_kernel
	.section	.text._ZN9rocsparseL22gebsrmvn_mxn_16_kernelILj72ELj12ELj6E21rocsparse_complex_numIdEEEvi20rocsparse_direction_NS_24const_host_device_scalarIT2_EEPKiS8_PKS5_iiSA_S6_PS5_21rocsparse_index_base_b,"axG",@progbits,_ZN9rocsparseL22gebsrmvn_mxn_16_kernelILj72ELj12ELj6E21rocsparse_complex_numIdEEEvi20rocsparse_direction_NS_24const_host_device_scalarIT2_EEPKiS8_PKS5_iiSA_S6_PS5_21rocsparse_index_base_b,comdat
.Lfunc_end133:
	.size	_ZN9rocsparseL22gebsrmvn_mxn_16_kernelILj72ELj12ELj6E21rocsparse_complex_numIdEEEvi20rocsparse_direction_NS_24const_host_device_scalarIT2_EEPKiS8_PKS5_iiSA_S6_PS5_21rocsparse_index_base_b, .Lfunc_end133-_ZN9rocsparseL22gebsrmvn_mxn_16_kernelILj72ELj12ELj6E21rocsparse_complex_numIdEEEvi20rocsparse_direction_NS_24const_host_device_scalarIT2_EEPKiS8_PKS5_iiSA_S6_PS5_21rocsparse_index_base_b
                                        ; -- End function
	.set _ZN9rocsparseL22gebsrmvn_mxn_16_kernelILj72ELj12ELj6E21rocsparse_complex_numIdEEEvi20rocsparse_direction_NS_24const_host_device_scalarIT2_EEPKiS8_PKS5_iiSA_S6_PS5_21rocsparse_index_base_b.num_vgpr, 28
	.set _ZN9rocsparseL22gebsrmvn_mxn_16_kernelILj72ELj12ELj6E21rocsparse_complex_numIdEEEvi20rocsparse_direction_NS_24const_host_device_scalarIT2_EEPKiS8_PKS5_iiSA_S6_PS5_21rocsparse_index_base_b.num_agpr, 0
	.set _ZN9rocsparseL22gebsrmvn_mxn_16_kernelILj72ELj12ELj6E21rocsparse_complex_numIdEEEvi20rocsparse_direction_NS_24const_host_device_scalarIT2_EEPKiS8_PKS5_iiSA_S6_PS5_21rocsparse_index_base_b.numbered_sgpr, 18
	.set _ZN9rocsparseL22gebsrmvn_mxn_16_kernelILj72ELj12ELj6E21rocsparse_complex_numIdEEEvi20rocsparse_direction_NS_24const_host_device_scalarIT2_EEPKiS8_PKS5_iiSA_S6_PS5_21rocsparse_index_base_b.num_named_barrier, 0
	.set _ZN9rocsparseL22gebsrmvn_mxn_16_kernelILj72ELj12ELj6E21rocsparse_complex_numIdEEEvi20rocsparse_direction_NS_24const_host_device_scalarIT2_EEPKiS8_PKS5_iiSA_S6_PS5_21rocsparse_index_base_b.private_seg_size, 0
	.set _ZN9rocsparseL22gebsrmvn_mxn_16_kernelILj72ELj12ELj6E21rocsparse_complex_numIdEEEvi20rocsparse_direction_NS_24const_host_device_scalarIT2_EEPKiS8_PKS5_iiSA_S6_PS5_21rocsparse_index_base_b.uses_vcc, 1
	.set _ZN9rocsparseL22gebsrmvn_mxn_16_kernelILj72ELj12ELj6E21rocsparse_complex_numIdEEEvi20rocsparse_direction_NS_24const_host_device_scalarIT2_EEPKiS8_PKS5_iiSA_S6_PS5_21rocsparse_index_base_b.uses_flat_scratch, 0
	.set _ZN9rocsparseL22gebsrmvn_mxn_16_kernelILj72ELj12ELj6E21rocsparse_complex_numIdEEEvi20rocsparse_direction_NS_24const_host_device_scalarIT2_EEPKiS8_PKS5_iiSA_S6_PS5_21rocsparse_index_base_b.has_dyn_sized_stack, 0
	.set _ZN9rocsparseL22gebsrmvn_mxn_16_kernelILj72ELj12ELj6E21rocsparse_complex_numIdEEEvi20rocsparse_direction_NS_24const_host_device_scalarIT2_EEPKiS8_PKS5_iiSA_S6_PS5_21rocsparse_index_base_b.has_recursion, 0
	.set _ZN9rocsparseL22gebsrmvn_mxn_16_kernelILj72ELj12ELj6E21rocsparse_complex_numIdEEEvi20rocsparse_direction_NS_24const_host_device_scalarIT2_EEPKiS8_PKS5_iiSA_S6_PS5_21rocsparse_index_base_b.has_indirect_call, 0
	.section	.AMDGPU.csdata,"",@progbits
; Kernel info:
; codeLenInByte = 1340
; TotalNumSgprs: 22
; NumVgprs: 28
; ScratchSize: 0
; MemoryBound: 0
; FloatMode: 240
; IeeeMode: 1
; LDSByteSize: 1152 bytes/workgroup (compile time only)
; SGPRBlocks: 2
; VGPRBlocks: 6
; NumSGPRsForWavesPerEU: 22
; NumVGPRsForWavesPerEU: 28
; Occupancy: 9
; WaveLimiterHint : 1
; COMPUTE_PGM_RSRC2:SCRATCH_EN: 0
; COMPUTE_PGM_RSRC2:USER_SGPR: 6
; COMPUTE_PGM_RSRC2:TRAP_HANDLER: 0
; COMPUTE_PGM_RSRC2:TGID_X_EN: 1
; COMPUTE_PGM_RSRC2:TGID_Y_EN: 0
; COMPUTE_PGM_RSRC2:TGID_Z_EN: 0
; COMPUTE_PGM_RSRC2:TIDIG_COMP_CNT: 0
	.section	.text._ZN9rocsparseL22gebsrmvn_mxn_16_kernelILj84ELj12ELj7E21rocsparse_complex_numIdEEEvi20rocsparse_direction_NS_24const_host_device_scalarIT2_EEPKiS8_PKS5_iiSA_S6_PS5_21rocsparse_index_base_b,"axG",@progbits,_ZN9rocsparseL22gebsrmvn_mxn_16_kernelILj84ELj12ELj7E21rocsparse_complex_numIdEEEvi20rocsparse_direction_NS_24const_host_device_scalarIT2_EEPKiS8_PKS5_iiSA_S6_PS5_21rocsparse_index_base_b,comdat
	.globl	_ZN9rocsparseL22gebsrmvn_mxn_16_kernelILj84ELj12ELj7E21rocsparse_complex_numIdEEEvi20rocsparse_direction_NS_24const_host_device_scalarIT2_EEPKiS8_PKS5_iiSA_S6_PS5_21rocsparse_index_base_b ; -- Begin function _ZN9rocsparseL22gebsrmvn_mxn_16_kernelILj84ELj12ELj7E21rocsparse_complex_numIdEEEvi20rocsparse_direction_NS_24const_host_device_scalarIT2_EEPKiS8_PKS5_iiSA_S6_PS5_21rocsparse_index_base_b
	.p2align	8
	.type	_ZN9rocsparseL22gebsrmvn_mxn_16_kernelILj84ELj12ELj7E21rocsparse_complex_numIdEEEvi20rocsparse_direction_NS_24const_host_device_scalarIT2_EEPKiS8_PKS5_iiSA_S6_PS5_21rocsparse_index_base_b,@function
_ZN9rocsparseL22gebsrmvn_mxn_16_kernelILj84ELj12ELj7E21rocsparse_complex_numIdEEEvi20rocsparse_direction_NS_24const_host_device_scalarIT2_EEPKiS8_PKS5_iiSA_S6_PS5_21rocsparse_index_base_b: ; @_ZN9rocsparseL22gebsrmvn_mxn_16_kernelILj84ELj12ELj7E21rocsparse_complex_numIdEEEvi20rocsparse_direction_NS_24const_host_device_scalarIT2_EEPKiS8_PKS5_iiSA_S6_PS5_21rocsparse_index_base_b
; %bb.0:
	s_load_dwordx2 s[0:1], s[4:5], 0x8
	s_load_dwordx2 s[2:3], s[4:5], 0x40
	;; [unrolled: 1-line block ×3, first 2 shown]
	s_add_u32 s7, s4, 8
	s_addc_u32 s8, s5, 0
	s_add_u32 s9, s4, 64
	s_addc_u32 s12, s5, 0
	s_waitcnt lgkmcnt(0)
	s_bitcmp1_b32 s11, 0
	s_cselect_b32 s1, s8, s1
	s_cselect_b32 s0, s7, s0
	v_mov_b32_e32 v1, s0
	v_mov_b32_e32 v2, s1
	flat_load_dwordx4 v[5:8], v[1:2]
	s_cselect_b32 s0, s12, s3
	s_cselect_b32 s1, s9, s2
	v_mov_b32_e32 v1, s1
	v_mov_b32_e32 v2, s0
	flat_load_dwordx4 v[1:4], v[1:2]
	s_waitcnt vmcnt(0) lgkmcnt(0)
	v_cmp_eq_f64_e32 vcc, 0, v[5:6]
	v_cmp_eq_f64_e64 s[0:1], 0, v[7:8]
	s_and_b64 s[8:9], vcc, s[0:1]
	s_mov_b64 s[0:1], -1
	s_and_saveexec_b64 s[2:3], s[8:9]
	s_cbranch_execz .LBB134_2
; %bb.1:
	v_cmp_neq_f64_e32 vcc, 1.0, v[1:2]
	v_cmp_neq_f64_e64 s[0:1], 0, v[3:4]
	s_or_b64 s[0:1], vcc, s[0:1]
	s_orn2_b64 s[0:1], s[0:1], exec
.LBB134_2:
	s_or_b64 exec, exec, s[2:3]
	s_and_saveexec_b64 s[2:3], s[0:1]
	s_cbranch_execz .LBB134_35
; %bb.3:
	s_load_dwordx2 s[0:1], s[4:5], 0x18
	s_load_dword s2, s[4:5], 0x4
	v_mul_u32_u24_e32 v10, 0x2493, v0
	v_mov_b32_e32 v9, 7
	v_mul_lo_u16_sdwa v10, v10, v9 dst_sel:DWORD dst_unused:UNUSED_PAD src0_sel:WORD_1 src1_sel:DWORD
	v_sub_u16_e32 v18, v0, v10
	s_waitcnt lgkmcnt(0)
	s_cmp_lg_u32 s2, 1
	s_cselect_b64 s[12:13], -1, 0
	s_and_b64 vcc, exec, s[12:13]
	v_mov_b32_e32 v13, v18
	s_cbranch_vccnz .LBB134_5
; %bb.4:
	s_movk_i32 s2, 0x1556
	v_mul_u32_u24_sdwa v10, v0, s2 dst_sel:DWORD dst_unused:UNUSED_PAD src0_sel:WORD_0 src1_sel:DWORD
	v_mov_b32_e32 v11, 37
	v_mul_lo_u16_sdwa v11, v10, v11 dst_sel:DWORD dst_unused:UNUSED_PAD src0_sel:WORD_1 src1_sel:DWORD
	v_mul_lo_u16_sdwa v9, v11, v9 dst_sel:DWORD dst_unused:UNUSED_PAD src0_sel:BYTE_1 src1_sel:DWORD
	v_sub_u16_sdwa v9, v10, v9 dst_sel:DWORD dst_unused:UNUSED_PAD src0_sel:WORD_1 src1_sel:DWORD
	v_and_b32_e32 v13, 0xff, v9
.LBB134_5:
	s_ashr_i32 s7, s6, 31
	s_lshl_b64 s[2:3], s[6:7], 2
	s_add_u32 s0, s0, s2
	s_addc_u32 s1, s1, s3
	s_load_dwordx2 s[16:17], s[0:1], 0x0
	s_load_dwordx2 s[8:9], s[4:5], 0x50
	v_mov_b32_e32 v11, 0
	v_mov_b32_e32 v9, 0
	;; [unrolled: 1-line block ×3, first 2 shown]
	s_waitcnt lgkmcnt(0)
	s_cmp_ge_i32 s16, s17
	v_mov_b32_e32 v10, 0
	s_cbranch_scc1 .LBB134_10
; %bb.6:
	s_load_dwordx4 s[0:3], s[4:5], 0x20
	s_load_dwordx2 s[14:15], s[4:5], 0x38
	s_movk_i32 s4, 0x30d
	v_mul_u32_u24_sdwa v19, v0, s4 dst_sel:DWORD dst_unused:UNUSED_PAD src0_sel:WORD_0 src1_sel:DWORD
	s_mul_i32 s4, s16, 0x54
	v_add_u32_e32 v9, s4, v0
	s_mul_i32 s4, s10, 0x54
	v_mov_b32_e32 v11, 0
	v_subrev_u32_e32 v14, s4, v9
	v_mov_b32_e32 v12, 0
	v_mov_b32_e32 v9, v11
	s_sub_i32 s7, s17, s10
	s_sub_i32 s11, s16, s10
	v_mov_b32_e32 v15, 0
	v_mov_b32_e32 v10, v12
	s_branch .LBB134_8
.LBB134_7:                              ;   in Loop: Header=BB134_8 Depth=1
	s_or_b64 exec, exec, s[4:5]
	s_add_i32 s11, s11, 1
	s_cmp_ge_i32 s11, s7
	v_add_u32_e32 v14, 0x54, v14
	s_cbranch_scc1 .LBB134_10
.LBB134_8:                              ; =>This Inner Loop Header: Depth=1
	v_add_u32_sdwa v16, v19, s11 dst_sel:DWORD dst_unused:UNUSED_PAD src0_sel:WORD_1 src1_sel:DWORD
	v_cmp_gt_i32_e32 vcc, s7, v16
	s_and_saveexec_b64 s[4:5], vcc
	s_cbranch_execz .LBB134_7
; %bb.9:                                ;   in Loop: Header=BB134_8 Depth=1
	v_ashrrev_i32_e32 v17, 31, v16
	v_lshlrev_b64 v[16:17], 2, v[16:17]
	s_waitcnt lgkmcnt(0)
	v_mov_b32_e32 v20, s1
	v_add_co_u32_e32 v16, vcc, s0, v16
	v_addc_co_u32_e32 v17, vcc, v20, v17, vcc
	global_load_dword v20, v[16:17], off
	v_lshlrev_b64 v[16:17], 4, v[14:15]
	v_mov_b32_e32 v21, s3
	v_add_co_u32_e32 v16, vcc, s2, v16
	v_addc_co_u32_e32 v17, vcc, v21, v17, vcc
	v_mov_b32_e32 v26, s15
	s_waitcnt vmcnt(0)
	v_subrev_u32_e32 v20, s10, v20
	v_mad_u64_u32 v[24:25], s[16:17], v20, 7, v[13:14]
	global_load_dwordx4 v[20:23], v[16:17], off
	v_ashrrev_i32_e32 v25, 31, v24
	v_lshlrev_b64 v[16:17], 4, v[24:25]
	v_add_co_u32_e32 v16, vcc, s14, v16
	v_addc_co_u32_e32 v17, vcc, v26, v17, vcc
	global_load_dwordx4 v[24:27], v[16:17], off
	s_waitcnt vmcnt(0)
	v_fma_f64 v[9:10], v[20:21], v[24:25], v[9:10]
	v_fma_f64 v[11:12], v[22:23], v[24:25], v[11:12]
	v_fma_f64 v[9:10], -v[22:23], v[26:27], v[9:10]
	v_fma_f64 v[11:12], v[20:21], v[26:27], v[11:12]
	s_branch .LBB134_7
.LBB134_10:
	v_lshlrev_b32_e32 v17, 4, v0
	s_and_b64 vcc, exec, s[12:13]
	ds_write_b128 v17, v[9:12]
	s_waitcnt lgkmcnt(0)
	s_barrier
	s_cbranch_vccz .LBB134_20
; %bb.11:
	v_cmp_gt_u16_e32 vcc, 3, v18
	s_and_saveexec_b64 s[0:1], vcc
	s_cbranch_execz .LBB134_13
; %bb.12:
	ds_read_b128 v[13:16], v17 offset:64
	ds_read_b128 v[19:22], v17
	s_waitcnt lgkmcnt(0)
	v_add_f64 v[13:14], v[13:14], v[19:20]
	v_add_f64 v[15:16], v[15:16], v[21:22]
	ds_write_b128 v17, v[13:16]
.LBB134_13:
	s_or_b64 exec, exec, s[0:1]
	v_cmp_gt_u16_e32 vcc, 2, v18
	s_waitcnt lgkmcnt(0)
	s_barrier
	s_and_saveexec_b64 s[0:1], vcc
	s_cbranch_execz .LBB134_15
; %bb.14:
	ds_read_b128 v[13:16], v17
	ds_read_b128 v[19:22], v17 offset:32
	s_waitcnt lgkmcnt(0)
	v_add_f64 v[13:14], v[19:20], v[13:14]
	v_add_f64 v[15:16], v[21:22], v[15:16]
	ds_write_b128 v17, v[13:16]
.LBB134_15:
	s_or_b64 exec, exec, s[0:1]
	v_cmp_eq_u16_e32 vcc, 0, v18
	s_waitcnt lgkmcnt(0)
	s_barrier
	s_and_saveexec_b64 s[0:1], vcc
	s_cbranch_execz .LBB134_17
; %bb.16:
	ds_read_b128 v[13:16], v17
	ds_read_b128 v[18:21], v17 offset:16
	s_waitcnt lgkmcnt(0)
	v_add_f64 v[13:14], v[18:19], v[13:14]
	v_add_f64 v[15:16], v[20:21], v[15:16]
	ds_write_b128 v17, v[13:16]
.LBB134_17:
	s_or_b64 exec, exec, s[0:1]
	v_mov_b32_e32 v16, v12
	v_mov_b32_e32 v14, v10
	v_cmp_gt_u32_e32 vcc, 12, v0
	v_mov_b32_e32 v15, v11
	v_mov_b32_e32 v13, v9
	s_waitcnt lgkmcnt(0)
	s_barrier
	s_and_saveexec_b64 s[0:1], vcc
; %bb.18:
	s_movk_i32 s2, 0x60
	v_mad_u32_u24 v13, v0, s2, v17
	ds_read_b128 v[13:16], v13
; %bb.19:
	s_or_b64 exec, exec, s[0:1]
	s_branch .LBB134_30
.LBB134_20:
                                        ; implicit-def: $vgpr15_vgpr16
	s_cbranch_execz .LBB134_30
; %bb.21:
	v_cmp_gt_u32_e32 vcc, 36, v0
	s_and_saveexec_b64 s[0:1], vcc
	s_cbranch_execz .LBB134_23
; %bb.22:
	s_waitcnt lgkmcnt(0)
	ds_read_b128 v[13:16], v17 offset:768
	ds_read_b128 v[18:21], v17
	s_waitcnt lgkmcnt(0)
	v_add_f64 v[13:14], v[13:14], v[18:19]
	v_add_f64 v[15:16], v[15:16], v[20:21]
	ds_write_b128 v17, v[13:16]
.LBB134_23:
	s_or_b64 exec, exec, s[0:1]
	v_cmp_gt_u32_e32 vcc, 24, v0
	s_waitcnt lgkmcnt(0)
	s_barrier
	s_and_saveexec_b64 s[0:1], vcc
	s_cbranch_execz .LBB134_25
; %bb.24:
	ds_read_b128 v[13:16], v17 offset:384
	ds_read_b128 v[18:21], v17
	s_waitcnt lgkmcnt(0)
	v_add_f64 v[13:14], v[13:14], v[18:19]
	v_add_f64 v[15:16], v[15:16], v[20:21]
	ds_write_b128 v17, v[13:16]
.LBB134_25:
	s_or_b64 exec, exec, s[0:1]
	v_cmp_lt_u32_e32 vcc, 11, v0
	s_waitcnt lgkmcnt(0)
	s_and_saveexec_b64 s[0:1], vcc
	s_xor_b64 s[0:1], exec, s[0:1]
; %bb.26:
                                        ; implicit-def: $vgpr17
; %bb.27:
	s_andn2_saveexec_b64 s[0:1], s[0:1]
	s_cbranch_execz .LBB134_29
; %bb.28:
	ds_read_b128 v[9:12], v17 offset:192
	ds_read_b128 v[13:16], v17
	s_waitcnt lgkmcnt(0)
	v_add_f64 v[9:10], v[9:10], v[13:14]
	v_add_f64 v[11:12], v[11:12], v[15:16]
	ds_write_b128 v17, v[9:12]
	s_waitcnt lgkmcnt(0)
	ds_read_b128 v[9:12], v17
.LBB134_29:
	s_or_b64 exec, exec, s[0:1]
	s_waitcnt lgkmcnt(0)
	v_mov_b32_e32 v16, v12
	v_mov_b32_e32 v14, v10
	;; [unrolled: 1-line block ×4, first 2 shown]
.LBB134_30:
	v_cmp_gt_u32_e32 vcc, 12, v0
	s_and_b64 exec, exec, vcc
	s_cbranch_execz .LBB134_35
; %bb.31:
	s_waitcnt lgkmcnt(0)
	v_mul_f64 v[9:10], v[15:16], -v[7:8]
	v_mul_f64 v[11:12], v[5:6], v[15:16]
	v_cmp_eq_f64_e32 vcc, 0, v[1:2]
	v_cmp_eq_f64_e64 s[0:1], 0, v[3:4]
	v_fma_f64 v[5:6], v[5:6], v[13:14], v[9:10]
	v_fma_f64 v[7:8], v[7:8], v[13:14], v[11:12]
	s_and_b64 s[0:1], vcc, s[0:1]
	s_and_saveexec_b64 s[2:3], s[0:1]
	s_xor_b64 s[0:1], exec, s[2:3]
	s_cbranch_execz .LBB134_33
; %bb.32:
	v_mad_u64_u32 v[0:1], s[2:3], s6, 12, v[0:1]
	v_mov_b32_e32 v1, 0
	v_mov_b32_e32 v2, s9
	v_lshlrev_b64 v[0:1], 4, v[0:1]
	v_add_co_u32_e32 v0, vcc, s8, v0
	v_addc_co_u32_e32 v1, vcc, v2, v1, vcc
	global_store_dwordx4 v[0:1], v[5:8], off
                                        ; implicit-def: $vgpr0
                                        ; implicit-def: $vgpr1_vgpr2
                                        ; implicit-def: $vgpr5_vgpr6
.LBB134_33:
	s_andn2_saveexec_b64 s[0:1], s[0:1]
	s_cbranch_execz .LBB134_35
; %bb.34:
	v_mad_u64_u32 v[9:10], s[0:1], s6, 12, v[0:1]
	v_mov_b32_e32 v10, 0
	v_mov_b32_e32 v0, s9
	v_lshlrev_b64 v[9:10], 4, v[9:10]
	v_add_co_u32_e32 v13, vcc, s8, v9
	v_addc_co_u32_e32 v14, vcc, v0, v10, vcc
	global_load_dwordx4 v[9:12], v[13:14], off
	s_waitcnt vmcnt(0)
	v_fma_f64 v[5:6], v[1:2], v[9:10], v[5:6]
	v_fma_f64 v[7:8], v[3:4], v[9:10], v[7:8]
	v_fma_f64 v[3:4], -v[3:4], v[11:12], v[5:6]
	v_fma_f64 v[5:6], v[1:2], v[11:12], v[7:8]
	global_store_dwordx4 v[13:14], v[3:6], off
.LBB134_35:
	s_endpgm
	.section	.rodata,"a",@progbits
	.p2align	6, 0x0
	.amdhsa_kernel _ZN9rocsparseL22gebsrmvn_mxn_16_kernelILj84ELj12ELj7E21rocsparse_complex_numIdEEEvi20rocsparse_direction_NS_24const_host_device_scalarIT2_EEPKiS8_PKS5_iiSA_S6_PS5_21rocsparse_index_base_b
		.amdhsa_group_segment_fixed_size 1344
		.amdhsa_private_segment_fixed_size 0
		.amdhsa_kernarg_size 96
		.amdhsa_user_sgpr_count 6
		.amdhsa_user_sgpr_private_segment_buffer 1
		.amdhsa_user_sgpr_dispatch_ptr 0
		.amdhsa_user_sgpr_queue_ptr 0
		.amdhsa_user_sgpr_kernarg_segment_ptr 1
		.amdhsa_user_sgpr_dispatch_id 0
		.amdhsa_user_sgpr_flat_scratch_init 0
		.amdhsa_user_sgpr_private_segment_size 0
		.amdhsa_uses_dynamic_stack 0
		.amdhsa_system_sgpr_private_segment_wavefront_offset 0
		.amdhsa_system_sgpr_workgroup_id_x 1
		.amdhsa_system_sgpr_workgroup_id_y 0
		.amdhsa_system_sgpr_workgroup_id_z 0
		.amdhsa_system_sgpr_workgroup_info 0
		.amdhsa_system_vgpr_workitem_id 0
		.amdhsa_next_free_vgpr 28
		.amdhsa_next_free_sgpr 18
		.amdhsa_reserve_vcc 1
		.amdhsa_reserve_flat_scratch 0
		.amdhsa_float_round_mode_32 0
		.amdhsa_float_round_mode_16_64 0
		.amdhsa_float_denorm_mode_32 3
		.amdhsa_float_denorm_mode_16_64 3
		.amdhsa_dx10_clamp 1
		.amdhsa_ieee_mode 1
		.amdhsa_fp16_overflow 0
		.amdhsa_exception_fp_ieee_invalid_op 0
		.amdhsa_exception_fp_denorm_src 0
		.amdhsa_exception_fp_ieee_div_zero 0
		.amdhsa_exception_fp_ieee_overflow 0
		.amdhsa_exception_fp_ieee_underflow 0
		.amdhsa_exception_fp_ieee_inexact 0
		.amdhsa_exception_int_div_zero 0
	.end_amdhsa_kernel
	.section	.text._ZN9rocsparseL22gebsrmvn_mxn_16_kernelILj84ELj12ELj7E21rocsparse_complex_numIdEEEvi20rocsparse_direction_NS_24const_host_device_scalarIT2_EEPKiS8_PKS5_iiSA_S6_PS5_21rocsparse_index_base_b,"axG",@progbits,_ZN9rocsparseL22gebsrmvn_mxn_16_kernelILj84ELj12ELj7E21rocsparse_complex_numIdEEEvi20rocsparse_direction_NS_24const_host_device_scalarIT2_EEPKiS8_PKS5_iiSA_S6_PS5_21rocsparse_index_base_b,comdat
.Lfunc_end134:
	.size	_ZN9rocsparseL22gebsrmvn_mxn_16_kernelILj84ELj12ELj7E21rocsparse_complex_numIdEEEvi20rocsparse_direction_NS_24const_host_device_scalarIT2_EEPKiS8_PKS5_iiSA_S6_PS5_21rocsparse_index_base_b, .Lfunc_end134-_ZN9rocsparseL22gebsrmvn_mxn_16_kernelILj84ELj12ELj7E21rocsparse_complex_numIdEEEvi20rocsparse_direction_NS_24const_host_device_scalarIT2_EEPKiS8_PKS5_iiSA_S6_PS5_21rocsparse_index_base_b
                                        ; -- End function
	.set _ZN9rocsparseL22gebsrmvn_mxn_16_kernelILj84ELj12ELj7E21rocsparse_complex_numIdEEEvi20rocsparse_direction_NS_24const_host_device_scalarIT2_EEPKiS8_PKS5_iiSA_S6_PS5_21rocsparse_index_base_b.num_vgpr, 28
	.set _ZN9rocsparseL22gebsrmvn_mxn_16_kernelILj84ELj12ELj7E21rocsparse_complex_numIdEEEvi20rocsparse_direction_NS_24const_host_device_scalarIT2_EEPKiS8_PKS5_iiSA_S6_PS5_21rocsparse_index_base_b.num_agpr, 0
	.set _ZN9rocsparseL22gebsrmvn_mxn_16_kernelILj84ELj12ELj7E21rocsparse_complex_numIdEEEvi20rocsparse_direction_NS_24const_host_device_scalarIT2_EEPKiS8_PKS5_iiSA_S6_PS5_21rocsparse_index_base_b.numbered_sgpr, 18
	.set _ZN9rocsparseL22gebsrmvn_mxn_16_kernelILj84ELj12ELj7E21rocsparse_complex_numIdEEEvi20rocsparse_direction_NS_24const_host_device_scalarIT2_EEPKiS8_PKS5_iiSA_S6_PS5_21rocsparse_index_base_b.num_named_barrier, 0
	.set _ZN9rocsparseL22gebsrmvn_mxn_16_kernelILj84ELj12ELj7E21rocsparse_complex_numIdEEEvi20rocsparse_direction_NS_24const_host_device_scalarIT2_EEPKiS8_PKS5_iiSA_S6_PS5_21rocsparse_index_base_b.private_seg_size, 0
	.set _ZN9rocsparseL22gebsrmvn_mxn_16_kernelILj84ELj12ELj7E21rocsparse_complex_numIdEEEvi20rocsparse_direction_NS_24const_host_device_scalarIT2_EEPKiS8_PKS5_iiSA_S6_PS5_21rocsparse_index_base_b.uses_vcc, 1
	.set _ZN9rocsparseL22gebsrmvn_mxn_16_kernelILj84ELj12ELj7E21rocsparse_complex_numIdEEEvi20rocsparse_direction_NS_24const_host_device_scalarIT2_EEPKiS8_PKS5_iiSA_S6_PS5_21rocsparse_index_base_b.uses_flat_scratch, 0
	.set _ZN9rocsparseL22gebsrmvn_mxn_16_kernelILj84ELj12ELj7E21rocsparse_complex_numIdEEEvi20rocsparse_direction_NS_24const_host_device_scalarIT2_EEPKiS8_PKS5_iiSA_S6_PS5_21rocsparse_index_base_b.has_dyn_sized_stack, 0
	.set _ZN9rocsparseL22gebsrmvn_mxn_16_kernelILj84ELj12ELj7E21rocsparse_complex_numIdEEEvi20rocsparse_direction_NS_24const_host_device_scalarIT2_EEPKiS8_PKS5_iiSA_S6_PS5_21rocsparse_index_base_b.has_recursion, 0
	.set _ZN9rocsparseL22gebsrmvn_mxn_16_kernelILj84ELj12ELj7E21rocsparse_complex_numIdEEEvi20rocsparse_direction_NS_24const_host_device_scalarIT2_EEPKiS8_PKS5_iiSA_S6_PS5_21rocsparse_index_base_b.has_indirect_call, 0
	.section	.AMDGPU.csdata,"",@progbits
; Kernel info:
; codeLenInByte = 1348
; TotalNumSgprs: 22
; NumVgprs: 28
; ScratchSize: 0
; MemoryBound: 0
; FloatMode: 240
; IeeeMode: 1
; LDSByteSize: 1344 bytes/workgroup (compile time only)
; SGPRBlocks: 2
; VGPRBlocks: 6
; NumSGPRsForWavesPerEU: 22
; NumVGPRsForWavesPerEU: 28
; Occupancy: 9
; WaveLimiterHint : 1
; COMPUTE_PGM_RSRC2:SCRATCH_EN: 0
; COMPUTE_PGM_RSRC2:USER_SGPR: 6
; COMPUTE_PGM_RSRC2:TRAP_HANDLER: 0
; COMPUTE_PGM_RSRC2:TGID_X_EN: 1
; COMPUTE_PGM_RSRC2:TGID_Y_EN: 0
; COMPUTE_PGM_RSRC2:TGID_Z_EN: 0
; COMPUTE_PGM_RSRC2:TIDIG_COMP_CNT: 0
	.section	.text._ZN9rocsparseL22gebsrmvn_mxn_16_kernelILj96ELj12ELj8E21rocsparse_complex_numIdEEEvi20rocsparse_direction_NS_24const_host_device_scalarIT2_EEPKiS8_PKS5_iiSA_S6_PS5_21rocsparse_index_base_b,"axG",@progbits,_ZN9rocsparseL22gebsrmvn_mxn_16_kernelILj96ELj12ELj8E21rocsparse_complex_numIdEEEvi20rocsparse_direction_NS_24const_host_device_scalarIT2_EEPKiS8_PKS5_iiSA_S6_PS5_21rocsparse_index_base_b,comdat
	.globl	_ZN9rocsparseL22gebsrmvn_mxn_16_kernelILj96ELj12ELj8E21rocsparse_complex_numIdEEEvi20rocsparse_direction_NS_24const_host_device_scalarIT2_EEPKiS8_PKS5_iiSA_S6_PS5_21rocsparse_index_base_b ; -- Begin function _ZN9rocsparseL22gebsrmvn_mxn_16_kernelILj96ELj12ELj8E21rocsparse_complex_numIdEEEvi20rocsparse_direction_NS_24const_host_device_scalarIT2_EEPKiS8_PKS5_iiSA_S6_PS5_21rocsparse_index_base_b
	.p2align	8
	.type	_ZN9rocsparseL22gebsrmvn_mxn_16_kernelILj96ELj12ELj8E21rocsparse_complex_numIdEEEvi20rocsparse_direction_NS_24const_host_device_scalarIT2_EEPKiS8_PKS5_iiSA_S6_PS5_21rocsparse_index_base_b,@function
_ZN9rocsparseL22gebsrmvn_mxn_16_kernelILj96ELj12ELj8E21rocsparse_complex_numIdEEEvi20rocsparse_direction_NS_24const_host_device_scalarIT2_EEPKiS8_PKS5_iiSA_S6_PS5_21rocsparse_index_base_b: ; @_ZN9rocsparseL22gebsrmvn_mxn_16_kernelILj96ELj12ELj8E21rocsparse_complex_numIdEEEvi20rocsparse_direction_NS_24const_host_device_scalarIT2_EEPKiS8_PKS5_iiSA_S6_PS5_21rocsparse_index_base_b
; %bb.0:
	s_load_dwordx2 s[0:1], s[4:5], 0x8
	s_load_dwordx2 s[2:3], s[4:5], 0x40
	s_load_dwordx2 s[10:11], s[4:5], 0x58
	s_add_u32 s7, s4, 8
	s_addc_u32 s8, s5, 0
	s_add_u32 s9, s4, 64
	s_addc_u32 s12, s5, 0
	s_waitcnt lgkmcnt(0)
	s_bitcmp1_b32 s11, 0
	s_cselect_b32 s1, s8, s1
	s_cselect_b32 s0, s7, s0
	v_mov_b32_e32 v1, s0
	v_mov_b32_e32 v2, s1
	flat_load_dwordx4 v[5:8], v[1:2]
	s_cselect_b32 s0, s12, s3
	s_cselect_b32 s1, s9, s2
	v_mov_b32_e32 v1, s1
	v_mov_b32_e32 v2, s0
	flat_load_dwordx4 v[1:4], v[1:2]
	s_waitcnt vmcnt(0) lgkmcnt(0)
	v_cmp_eq_f64_e32 vcc, 0, v[5:6]
	v_cmp_eq_f64_e64 s[0:1], 0, v[7:8]
	s_and_b64 s[8:9], vcc, s[0:1]
	s_mov_b64 s[0:1], -1
	s_and_saveexec_b64 s[2:3], s[8:9]
	s_cbranch_execz .LBB135_2
; %bb.1:
	v_cmp_neq_f64_e32 vcc, 1.0, v[1:2]
	v_cmp_neq_f64_e64 s[0:1], 0, v[3:4]
	s_or_b64 s[0:1], vcc, s[0:1]
	s_orn2_b64 s[0:1], s[0:1], exec
.LBB135_2:
	s_or_b64 exec, exec, s[2:3]
	s_and_saveexec_b64 s[2:3], s[0:1]
	s_cbranch_execz .LBB135_35
; %bb.3:
	s_load_dword s2, s[4:5], 0x4
	s_load_dwordx2 s[0:1], s[4:5], 0x18
	v_and_b32_e32 v18, 7, v0
	v_mov_b32_e32 v17, v18
	s_waitcnt lgkmcnt(0)
	s_cmp_lg_u32 s2, 1
	s_cselect_b64 s[12:13], -1, 0
	s_and_b64 vcc, exec, s[12:13]
	s_cbranch_vccnz .LBB135_5
; %bb.4:
	v_mul_u32_u24_e32 v9, 0x1556, v0
	v_bfe_u32 v17, v9, 16, 3
.LBB135_5:
	s_ashr_i32 s7, s6, 31
	s_lshl_b64 s[2:3], s[6:7], 2
	s_add_u32 s0, s0, s2
	s_addc_u32 s1, s1, s3
	s_load_dwordx2 s[16:17], s[0:1], 0x0
	s_load_dwordx2 s[8:9], s[4:5], 0x50
	v_mov_b32_e32 v11, 0
	v_mov_b32_e32 v9, 0
	;; [unrolled: 1-line block ×3, first 2 shown]
	s_waitcnt lgkmcnt(0)
	s_cmp_ge_i32 s16, s17
	v_mov_b32_e32 v10, 0
	s_cbranch_scc1 .LBB135_10
; %bb.6:
	s_load_dwordx4 s[0:3], s[4:5], 0x20
	s_load_dwordx2 s[14:15], s[4:5], 0x38
	s_mul_i32 s4, s16, 0x60
	v_add_u32_e32 v9, s4, v0
	s_mul_i32 s4, s10, 0x60
	v_mov_b32_e32 v11, 0
	v_subrev_u32_e32 v13, s4, v9
	v_mov_b32_e32 v12, 0
	v_mov_b32_e32 v9, v11
	s_sub_i32 s7, s17, s10
	s_sub_i32 s11, s16, s10
	v_mul_u32_u24_e32 v19, 0x2ab, v0
	v_mov_b32_e32 v14, 0
	v_mov_b32_e32 v10, v12
	s_branch .LBB135_8
.LBB135_7:                              ;   in Loop: Header=BB135_8 Depth=1
	s_or_b64 exec, exec, s[4:5]
	s_add_i32 s11, s11, 1
	s_cmp_ge_i32 s11, s7
	v_add_u32_e32 v13, 0x60, v13
	s_cbranch_scc1 .LBB135_10
.LBB135_8:                              ; =>This Inner Loop Header: Depth=1
	v_add_u32_sdwa v15, v19, s11 dst_sel:DWORD dst_unused:UNUSED_PAD src0_sel:WORD_1 src1_sel:DWORD
	v_cmp_gt_i32_e32 vcc, s7, v15
	s_and_saveexec_b64 s[4:5], vcc
	s_cbranch_execz .LBB135_7
; %bb.9:                                ;   in Loop: Header=BB135_8 Depth=1
	v_ashrrev_i32_e32 v16, 31, v15
	v_lshlrev_b64 v[15:16], 2, v[15:16]
	s_waitcnt lgkmcnt(0)
	v_mov_b32_e32 v20, s1
	v_add_co_u32_e32 v15, vcc, s0, v15
	v_addc_co_u32_e32 v16, vcc, v20, v16, vcc
	global_load_dword v24, v[15:16], off
	v_lshlrev_b64 v[15:16], 4, v[13:14]
	v_mov_b32_e32 v20, s3
	v_add_co_u32_e32 v15, vcc, s2, v15
	v_addc_co_u32_e32 v16, vcc, v20, v16, vcc
	global_load_dwordx4 v[20:23], v[15:16], off
	v_mov_b32_e32 v25, s15
	s_waitcnt vmcnt(1)
	v_subrev_u32_e32 v15, s10, v24
	v_lshl_or_b32 v15, v15, 3, v17
	v_ashrrev_i32_e32 v16, 31, v15
	v_lshlrev_b64 v[15:16], 4, v[15:16]
	v_add_co_u32_e32 v15, vcc, s14, v15
	v_addc_co_u32_e32 v16, vcc, v25, v16, vcc
	global_load_dwordx4 v[24:27], v[15:16], off
	s_waitcnt vmcnt(0)
	v_fma_f64 v[9:10], v[20:21], v[24:25], v[9:10]
	v_fma_f64 v[11:12], v[22:23], v[24:25], v[11:12]
	v_fma_f64 v[9:10], -v[22:23], v[26:27], v[9:10]
	v_fma_f64 v[11:12], v[20:21], v[26:27], v[11:12]
	s_branch .LBB135_7
.LBB135_10:
	v_lshlrev_b32_e32 v17, 4, v0
	s_and_b64 vcc, exec, s[12:13]
	ds_write_b128 v17, v[9:12]
	s_waitcnt lgkmcnt(0)
	s_barrier
	s_cbranch_vccz .LBB135_20
; %bb.11:
	v_cmp_gt_u32_e32 vcc, 4, v18
	s_and_saveexec_b64 s[0:1], vcc
	s_cbranch_execz .LBB135_13
; %bb.12:
	ds_read_b128 v[13:16], v17 offset:64
	ds_read_b128 v[19:22], v17
	s_waitcnt lgkmcnt(0)
	v_add_f64 v[13:14], v[13:14], v[19:20]
	v_add_f64 v[15:16], v[15:16], v[21:22]
	ds_write_b128 v17, v[13:16]
.LBB135_13:
	s_or_b64 exec, exec, s[0:1]
	v_cmp_gt_u32_e32 vcc, 2, v18
	s_waitcnt lgkmcnt(0)
	s_barrier
	s_and_saveexec_b64 s[0:1], vcc
	s_cbranch_execz .LBB135_15
; %bb.14:
	ds_read_b128 v[13:16], v17
	ds_read_b128 v[19:22], v17 offset:32
	s_waitcnt lgkmcnt(0)
	v_add_f64 v[13:14], v[19:20], v[13:14]
	v_add_f64 v[15:16], v[21:22], v[15:16]
	ds_write_b128 v17, v[13:16]
.LBB135_15:
	s_or_b64 exec, exec, s[0:1]
	v_cmp_eq_u32_e32 vcc, 0, v18
	s_waitcnt lgkmcnt(0)
	s_barrier
	s_and_saveexec_b64 s[0:1], vcc
	s_cbranch_execz .LBB135_17
; %bb.16:
	ds_read_b128 v[13:16], v17
	ds_read_b128 v[18:21], v17 offset:16
	s_waitcnt lgkmcnt(0)
	v_add_f64 v[13:14], v[18:19], v[13:14]
	v_add_f64 v[15:16], v[20:21], v[15:16]
	ds_write_b128 v17, v[13:16]
.LBB135_17:
	s_or_b64 exec, exec, s[0:1]
	v_mov_b32_e32 v16, v12
	v_mov_b32_e32 v14, v10
	v_cmp_gt_u32_e32 vcc, 12, v0
	v_mov_b32_e32 v15, v11
	v_mov_b32_e32 v13, v9
	s_waitcnt lgkmcnt(0)
	s_barrier
	s_and_saveexec_b64 s[0:1], vcc
; %bb.18:
	s_movk_i32 s2, 0x70
	v_mad_u32_u24 v13, v0, s2, v17
	ds_read_b128 v[13:16], v13
; %bb.19:
	s_or_b64 exec, exec, s[0:1]
	s_branch .LBB135_30
.LBB135_20:
                                        ; implicit-def: $vgpr15_vgpr16
	s_cbranch_execz .LBB135_30
; %bb.21:
	v_cmp_gt_u32_e32 vcc, 48, v0
	s_and_saveexec_b64 s[0:1], vcc
	s_cbranch_execz .LBB135_23
; %bb.22:
	s_waitcnt lgkmcnt(0)
	ds_read_b128 v[13:16], v17 offset:768
	ds_read_b128 v[18:21], v17
	s_waitcnt lgkmcnt(0)
	v_add_f64 v[13:14], v[13:14], v[18:19]
	v_add_f64 v[15:16], v[15:16], v[20:21]
	ds_write_b128 v17, v[13:16]
.LBB135_23:
	s_or_b64 exec, exec, s[0:1]
	v_cmp_gt_u32_e32 vcc, 24, v0
	s_waitcnt lgkmcnt(0)
	s_barrier
	s_and_saveexec_b64 s[0:1], vcc
	s_cbranch_execz .LBB135_25
; %bb.24:
	ds_read_b128 v[13:16], v17 offset:384
	ds_read_b128 v[18:21], v17
	s_waitcnt lgkmcnt(0)
	v_add_f64 v[13:14], v[13:14], v[18:19]
	v_add_f64 v[15:16], v[15:16], v[20:21]
	ds_write_b128 v17, v[13:16]
.LBB135_25:
	s_or_b64 exec, exec, s[0:1]
	v_cmp_lt_u32_e32 vcc, 11, v0
	s_waitcnt lgkmcnt(0)
	s_and_saveexec_b64 s[0:1], vcc
	s_xor_b64 s[0:1], exec, s[0:1]
; %bb.26:
                                        ; implicit-def: $vgpr17
; %bb.27:
	s_andn2_saveexec_b64 s[0:1], s[0:1]
	s_cbranch_execz .LBB135_29
; %bb.28:
	ds_read_b128 v[9:12], v17 offset:192
	ds_read_b128 v[13:16], v17
	s_waitcnt lgkmcnt(0)
	v_add_f64 v[9:10], v[9:10], v[13:14]
	v_add_f64 v[11:12], v[11:12], v[15:16]
	ds_write_b128 v17, v[9:12]
	s_waitcnt lgkmcnt(0)
	ds_read_b128 v[9:12], v17
.LBB135_29:
	s_or_b64 exec, exec, s[0:1]
	s_waitcnt lgkmcnt(0)
	v_mov_b32_e32 v16, v12
	v_mov_b32_e32 v14, v10
	;; [unrolled: 1-line block ×4, first 2 shown]
.LBB135_30:
	v_cmp_gt_u32_e32 vcc, 12, v0
	s_and_b64 exec, exec, vcc
	s_cbranch_execz .LBB135_35
; %bb.31:
	s_waitcnt lgkmcnt(0)
	v_mul_f64 v[9:10], v[15:16], -v[7:8]
	v_mul_f64 v[11:12], v[5:6], v[15:16]
	v_cmp_eq_f64_e32 vcc, 0, v[1:2]
	v_cmp_eq_f64_e64 s[0:1], 0, v[3:4]
	v_fma_f64 v[5:6], v[5:6], v[13:14], v[9:10]
	v_fma_f64 v[7:8], v[7:8], v[13:14], v[11:12]
	s_and_b64 s[0:1], vcc, s[0:1]
	s_and_saveexec_b64 s[2:3], s[0:1]
	s_xor_b64 s[0:1], exec, s[2:3]
	s_cbranch_execz .LBB135_33
; %bb.32:
	v_mad_u64_u32 v[0:1], s[2:3], s6, 12, v[0:1]
	v_mov_b32_e32 v1, 0
	v_mov_b32_e32 v2, s9
	v_lshlrev_b64 v[0:1], 4, v[0:1]
	v_add_co_u32_e32 v0, vcc, s8, v0
	v_addc_co_u32_e32 v1, vcc, v2, v1, vcc
	global_store_dwordx4 v[0:1], v[5:8], off
                                        ; implicit-def: $vgpr0
                                        ; implicit-def: $vgpr1_vgpr2
                                        ; implicit-def: $vgpr5_vgpr6
.LBB135_33:
	s_andn2_saveexec_b64 s[0:1], s[0:1]
	s_cbranch_execz .LBB135_35
; %bb.34:
	v_mad_u64_u32 v[9:10], s[0:1], s6, 12, v[0:1]
	v_mov_b32_e32 v10, 0
	v_mov_b32_e32 v0, s9
	v_lshlrev_b64 v[9:10], 4, v[9:10]
	v_add_co_u32_e32 v13, vcc, s8, v9
	v_addc_co_u32_e32 v14, vcc, v0, v10, vcc
	global_load_dwordx4 v[9:12], v[13:14], off
	s_waitcnt vmcnt(0)
	v_fma_f64 v[5:6], v[1:2], v[9:10], v[5:6]
	v_fma_f64 v[7:8], v[3:4], v[9:10], v[7:8]
	v_fma_f64 v[3:4], -v[3:4], v[11:12], v[5:6]
	v_fma_f64 v[5:6], v[1:2], v[11:12], v[7:8]
	global_store_dwordx4 v[13:14], v[3:6], off
.LBB135_35:
	s_endpgm
	.section	.rodata,"a",@progbits
	.p2align	6, 0x0
	.amdhsa_kernel _ZN9rocsparseL22gebsrmvn_mxn_16_kernelILj96ELj12ELj8E21rocsparse_complex_numIdEEEvi20rocsparse_direction_NS_24const_host_device_scalarIT2_EEPKiS8_PKS5_iiSA_S6_PS5_21rocsparse_index_base_b
		.amdhsa_group_segment_fixed_size 1536
		.amdhsa_private_segment_fixed_size 0
		.amdhsa_kernarg_size 96
		.amdhsa_user_sgpr_count 6
		.amdhsa_user_sgpr_private_segment_buffer 1
		.amdhsa_user_sgpr_dispatch_ptr 0
		.amdhsa_user_sgpr_queue_ptr 0
		.amdhsa_user_sgpr_kernarg_segment_ptr 1
		.amdhsa_user_sgpr_dispatch_id 0
		.amdhsa_user_sgpr_flat_scratch_init 0
		.amdhsa_user_sgpr_private_segment_size 0
		.amdhsa_uses_dynamic_stack 0
		.amdhsa_system_sgpr_private_segment_wavefront_offset 0
		.amdhsa_system_sgpr_workgroup_id_x 1
		.amdhsa_system_sgpr_workgroup_id_y 0
		.amdhsa_system_sgpr_workgroup_id_z 0
		.amdhsa_system_sgpr_workgroup_info 0
		.amdhsa_system_vgpr_workitem_id 0
		.amdhsa_next_free_vgpr 28
		.amdhsa_next_free_sgpr 18
		.amdhsa_reserve_vcc 1
		.amdhsa_reserve_flat_scratch 0
		.amdhsa_float_round_mode_32 0
		.amdhsa_float_round_mode_16_64 0
		.amdhsa_float_denorm_mode_32 3
		.amdhsa_float_denorm_mode_16_64 3
		.amdhsa_dx10_clamp 1
		.amdhsa_ieee_mode 1
		.amdhsa_fp16_overflow 0
		.amdhsa_exception_fp_ieee_invalid_op 0
		.amdhsa_exception_fp_denorm_src 0
		.amdhsa_exception_fp_ieee_div_zero 0
		.amdhsa_exception_fp_ieee_overflow 0
		.amdhsa_exception_fp_ieee_underflow 0
		.amdhsa_exception_fp_ieee_inexact 0
		.amdhsa_exception_int_div_zero 0
	.end_amdhsa_kernel
	.section	.text._ZN9rocsparseL22gebsrmvn_mxn_16_kernelILj96ELj12ELj8E21rocsparse_complex_numIdEEEvi20rocsparse_direction_NS_24const_host_device_scalarIT2_EEPKiS8_PKS5_iiSA_S6_PS5_21rocsparse_index_base_b,"axG",@progbits,_ZN9rocsparseL22gebsrmvn_mxn_16_kernelILj96ELj12ELj8E21rocsparse_complex_numIdEEEvi20rocsparse_direction_NS_24const_host_device_scalarIT2_EEPKiS8_PKS5_iiSA_S6_PS5_21rocsparse_index_base_b,comdat
.Lfunc_end135:
	.size	_ZN9rocsparseL22gebsrmvn_mxn_16_kernelILj96ELj12ELj8E21rocsparse_complex_numIdEEEvi20rocsparse_direction_NS_24const_host_device_scalarIT2_EEPKiS8_PKS5_iiSA_S6_PS5_21rocsparse_index_base_b, .Lfunc_end135-_ZN9rocsparseL22gebsrmvn_mxn_16_kernelILj96ELj12ELj8E21rocsparse_complex_numIdEEEvi20rocsparse_direction_NS_24const_host_device_scalarIT2_EEPKiS8_PKS5_iiSA_S6_PS5_21rocsparse_index_base_b
                                        ; -- End function
	.set _ZN9rocsparseL22gebsrmvn_mxn_16_kernelILj96ELj12ELj8E21rocsparse_complex_numIdEEEvi20rocsparse_direction_NS_24const_host_device_scalarIT2_EEPKiS8_PKS5_iiSA_S6_PS5_21rocsparse_index_base_b.num_vgpr, 28
	.set _ZN9rocsparseL22gebsrmvn_mxn_16_kernelILj96ELj12ELj8E21rocsparse_complex_numIdEEEvi20rocsparse_direction_NS_24const_host_device_scalarIT2_EEPKiS8_PKS5_iiSA_S6_PS5_21rocsparse_index_base_b.num_agpr, 0
	.set _ZN9rocsparseL22gebsrmvn_mxn_16_kernelILj96ELj12ELj8E21rocsparse_complex_numIdEEEvi20rocsparse_direction_NS_24const_host_device_scalarIT2_EEPKiS8_PKS5_iiSA_S6_PS5_21rocsparse_index_base_b.numbered_sgpr, 18
	.set _ZN9rocsparseL22gebsrmvn_mxn_16_kernelILj96ELj12ELj8E21rocsparse_complex_numIdEEEvi20rocsparse_direction_NS_24const_host_device_scalarIT2_EEPKiS8_PKS5_iiSA_S6_PS5_21rocsparse_index_base_b.num_named_barrier, 0
	.set _ZN9rocsparseL22gebsrmvn_mxn_16_kernelILj96ELj12ELj8E21rocsparse_complex_numIdEEEvi20rocsparse_direction_NS_24const_host_device_scalarIT2_EEPKiS8_PKS5_iiSA_S6_PS5_21rocsparse_index_base_b.private_seg_size, 0
	.set _ZN9rocsparseL22gebsrmvn_mxn_16_kernelILj96ELj12ELj8E21rocsparse_complex_numIdEEEvi20rocsparse_direction_NS_24const_host_device_scalarIT2_EEPKiS8_PKS5_iiSA_S6_PS5_21rocsparse_index_base_b.uses_vcc, 1
	.set _ZN9rocsparseL22gebsrmvn_mxn_16_kernelILj96ELj12ELj8E21rocsparse_complex_numIdEEEvi20rocsparse_direction_NS_24const_host_device_scalarIT2_EEPKiS8_PKS5_iiSA_S6_PS5_21rocsparse_index_base_b.uses_flat_scratch, 0
	.set _ZN9rocsparseL22gebsrmvn_mxn_16_kernelILj96ELj12ELj8E21rocsparse_complex_numIdEEEvi20rocsparse_direction_NS_24const_host_device_scalarIT2_EEPKiS8_PKS5_iiSA_S6_PS5_21rocsparse_index_base_b.has_dyn_sized_stack, 0
	.set _ZN9rocsparseL22gebsrmvn_mxn_16_kernelILj96ELj12ELj8E21rocsparse_complex_numIdEEEvi20rocsparse_direction_NS_24const_host_device_scalarIT2_EEPKiS8_PKS5_iiSA_S6_PS5_21rocsparse_index_base_b.has_recursion, 0
	.set _ZN9rocsparseL22gebsrmvn_mxn_16_kernelILj96ELj12ELj8E21rocsparse_complex_numIdEEEvi20rocsparse_direction_NS_24const_host_device_scalarIT2_EEPKiS8_PKS5_iiSA_S6_PS5_21rocsparse_index_base_b.has_indirect_call, 0
	.section	.AMDGPU.csdata,"",@progbits
; Kernel info:
; codeLenInByte = 1292
; TotalNumSgprs: 22
; NumVgprs: 28
; ScratchSize: 0
; MemoryBound: 0
; FloatMode: 240
; IeeeMode: 1
; LDSByteSize: 1536 bytes/workgroup (compile time only)
; SGPRBlocks: 2
; VGPRBlocks: 6
; NumSGPRsForWavesPerEU: 22
; NumVGPRsForWavesPerEU: 28
; Occupancy: 9
; WaveLimiterHint : 1
; COMPUTE_PGM_RSRC2:SCRATCH_EN: 0
; COMPUTE_PGM_RSRC2:USER_SGPR: 6
; COMPUTE_PGM_RSRC2:TRAP_HANDLER: 0
; COMPUTE_PGM_RSRC2:TGID_X_EN: 1
; COMPUTE_PGM_RSRC2:TGID_Y_EN: 0
; COMPUTE_PGM_RSRC2:TGID_Z_EN: 0
; COMPUTE_PGM_RSRC2:TIDIG_COMP_CNT: 0
	.section	.AMDGPU.gpr_maximums,"",@progbits
	.set amdgpu.max_num_vgpr, 0
	.set amdgpu.max_num_agpr, 0
	.set amdgpu.max_num_sgpr, 0
	.section	.AMDGPU.csdata,"",@progbits
	.type	__hip_cuid_b0d240ec7c56f76f,@object ; @__hip_cuid_b0d240ec7c56f76f
	.section	.bss,"aw",@nobits
	.globl	__hip_cuid_b0d240ec7c56f76f
__hip_cuid_b0d240ec7c56f76f:
	.byte	0                               ; 0x0
	.size	__hip_cuid_b0d240ec7c56f76f, 1

	.ident	"AMD clang version 22.0.0git (https://github.com/RadeonOpenCompute/llvm-project roc-7.2.4 26084 f58b06dce1f9c15707c5f808fd002e18c2accf7e)"
	.section	".note.GNU-stack","",@progbits
	.addrsig
	.addrsig_sym __hip_cuid_b0d240ec7c56f76f
	.amdgpu_metadata
---
amdhsa.kernels:
  - .args:
      - .offset:         0
        .size:           4
        .value_kind:     by_value
      - .offset:         4
        .size:           4
        .value_kind:     by_value
      - .offset:         8
        .size:           8
        .value_kind:     by_value
      - .actual_access:  read_only
        .address_space:  global
        .offset:         16
        .size:           8
        .value_kind:     global_buffer
      - .actual_access:  read_only
        .address_space:  global
        .offset:         24
        .size:           8
        .value_kind:     global_buffer
      - .actual_access:  read_only
        .address_space:  global
        .offset:         32
        .size:           8
        .value_kind:     global_buffer
      - .offset:         40
        .size:           4
        .value_kind:     by_value
      - .offset:         44
        .size:           4
        .value_kind:     by_value
      - .actual_access:  read_only
        .address_space:  global
        .offset:         48
        .size:           8
        .value_kind:     global_buffer
      - .offset:         56
        .size:           8
        .value_kind:     by_value
      - .address_space:  global
        .offset:         64
        .size:           8
        .value_kind:     global_buffer
      - .offset:         72
        .size:           4
        .value_kind:     by_value
      - .offset:         76
        .size:           1
        .value_kind:     by_value
    .group_segment_fixed_size: 252
    .kernarg_segment_align: 8
    .kernarg_segment_size: 80
    .language:       OpenCL C
    .language_version:
      - 2
      - 0
    .max_flat_workgroup_size: 63
    .name:           _ZN9rocsparseL22gebsrmvn_mxn_16_kernelILj63ELj9ELj1EfEEvi20rocsparse_direction_NS_24const_host_device_scalarIT2_EEPKiS6_PKS3_iiS8_S4_PS3_21rocsparse_index_base_b
    .private_segment_fixed_size: 0
    .sgpr_count:     24
    .sgpr_spill_count: 0
    .symbol:         _ZN9rocsparseL22gebsrmvn_mxn_16_kernelILj63ELj9ELj1EfEEvi20rocsparse_direction_NS_24const_host_device_scalarIT2_EEPKiS6_PKS3_iiS8_S4_PS3_21rocsparse_index_base_b.kd
    .uniform_work_group_size: 1
    .uses_dynamic_stack: false
    .vgpr_count:     10
    .vgpr_spill_count: 0
    .wavefront_size: 64
  - .args:
      - .offset:         0
        .size:           4
        .value_kind:     by_value
      - .offset:         4
        .size:           4
        .value_kind:     by_value
      - .offset:         8
        .size:           8
        .value_kind:     by_value
      - .actual_access:  read_only
        .address_space:  global
        .offset:         16
        .size:           8
        .value_kind:     global_buffer
      - .actual_access:  read_only
        .address_space:  global
        .offset:         24
        .size:           8
        .value_kind:     global_buffer
      - .actual_access:  read_only
        .address_space:  global
        .offset:         32
        .size:           8
        .value_kind:     global_buffer
      - .offset:         40
        .size:           4
        .value_kind:     by_value
      - .offset:         44
        .size:           4
        .value_kind:     by_value
      - .actual_access:  read_only
        .address_space:  global
        .offset:         48
        .size:           8
        .value_kind:     global_buffer
      - .offset:         56
        .size:           8
        .value_kind:     by_value
      - .address_space:  global
        .offset:         64
        .size:           8
        .value_kind:     global_buffer
      - .offset:         72
        .size:           4
        .value_kind:     by_value
      - .offset:         76
        .size:           1
        .value_kind:     by_value
    .group_segment_fixed_size: 216
    .kernarg_segment_align: 8
    .kernarg_segment_size: 80
    .language:       OpenCL C
    .language_version:
      - 2
      - 0
    .max_flat_workgroup_size: 54
    .name:           _ZN9rocsparseL22gebsrmvn_mxn_16_kernelILj54ELj9ELj2EfEEvi20rocsparse_direction_NS_24const_host_device_scalarIT2_EEPKiS6_PKS3_iiS8_S4_PS3_21rocsparse_index_base_b
    .private_segment_fixed_size: 0
    .sgpr_count:     26
    .sgpr_spill_count: 0
    .symbol:         _ZN9rocsparseL22gebsrmvn_mxn_16_kernelILj54ELj9ELj2EfEEvi20rocsparse_direction_NS_24const_host_device_scalarIT2_EEPKiS6_PKS3_iiS8_S4_PS3_21rocsparse_index_base_b.kd
    .uniform_work_group_size: 1
    .uses_dynamic_stack: false
    .vgpr_count:     12
    .vgpr_spill_count: 0
    .wavefront_size: 64
  - .args:
      - .offset:         0
        .size:           4
        .value_kind:     by_value
      - .offset:         4
        .size:           4
        .value_kind:     by_value
      - .offset:         8
        .size:           8
        .value_kind:     by_value
      - .actual_access:  read_only
        .address_space:  global
        .offset:         16
        .size:           8
        .value_kind:     global_buffer
      - .actual_access:  read_only
        .address_space:  global
        .offset:         24
        .size:           8
        .value_kind:     global_buffer
      - .actual_access:  read_only
        .address_space:  global
        .offset:         32
        .size:           8
        .value_kind:     global_buffer
      - .offset:         40
        .size:           4
        .value_kind:     by_value
      - .offset:         44
        .size:           4
        .value_kind:     by_value
      - .actual_access:  read_only
        .address_space:  global
        .offset:         48
        .size:           8
        .value_kind:     global_buffer
      - .offset:         56
        .size:           8
        .value_kind:     by_value
      - .address_space:  global
        .offset:         64
        .size:           8
        .value_kind:     global_buffer
      - .offset:         72
        .size:           4
        .value_kind:     by_value
      - .offset:         76
        .size:           1
        .value_kind:     by_value
    .group_segment_fixed_size: 216
    .kernarg_segment_align: 8
    .kernarg_segment_size: 80
    .language:       OpenCL C
    .language_version:
      - 2
      - 0
    .max_flat_workgroup_size: 54
    .name:           _ZN9rocsparseL22gebsrmvn_mxn_16_kernelILj54ELj9ELj3EfEEvi20rocsparse_direction_NS_24const_host_device_scalarIT2_EEPKiS6_PKS3_iiS8_S4_PS3_21rocsparse_index_base_b
    .private_segment_fixed_size: 0
    .sgpr_count:     26
    .sgpr_spill_count: 0
    .symbol:         _ZN9rocsparseL22gebsrmvn_mxn_16_kernelILj54ELj9ELj3EfEEvi20rocsparse_direction_NS_24const_host_device_scalarIT2_EEPKiS6_PKS3_iiS8_S4_PS3_21rocsparse_index_base_b.kd
    .uniform_work_group_size: 1
    .uses_dynamic_stack: false
    .vgpr_count:     13
    .vgpr_spill_count: 0
    .wavefront_size: 64
  - .args:
      - .offset:         0
        .size:           4
        .value_kind:     by_value
      - .offset:         4
        .size:           4
        .value_kind:     by_value
      - .offset:         8
        .size:           8
        .value_kind:     by_value
      - .actual_access:  read_only
        .address_space:  global
        .offset:         16
        .size:           8
        .value_kind:     global_buffer
      - .actual_access:  read_only
        .address_space:  global
        .offset:         24
        .size:           8
        .value_kind:     global_buffer
      - .actual_access:  read_only
        .address_space:  global
        .offset:         32
        .size:           8
        .value_kind:     global_buffer
      - .offset:         40
        .size:           4
        .value_kind:     by_value
      - .offset:         44
        .size:           4
        .value_kind:     by_value
      - .actual_access:  read_only
        .address_space:  global
        .offset:         48
        .size:           8
        .value_kind:     global_buffer
      - .offset:         56
        .size:           8
        .value_kind:     by_value
      - .address_space:  global
        .offset:         64
        .size:           8
        .value_kind:     global_buffer
      - .offset:         72
        .size:           4
        .value_kind:     by_value
      - .offset:         76
        .size:           1
        .value_kind:     by_value
    .group_segment_fixed_size: 144
    .kernarg_segment_align: 8
    .kernarg_segment_size: 80
    .language:       OpenCL C
    .language_version:
      - 2
      - 0
    .max_flat_workgroup_size: 36
    .name:           _ZN9rocsparseL22gebsrmvn_mxn_16_kernelILj36ELj9ELj4EfEEvi20rocsparse_direction_NS_24const_host_device_scalarIT2_EEPKiS6_PKS3_iiS8_S4_PS3_21rocsparse_index_base_b
    .private_segment_fixed_size: 0
    .sgpr_count:     26
    .sgpr_spill_count: 0
    .symbol:         _ZN9rocsparseL22gebsrmvn_mxn_16_kernelILj36ELj9ELj4EfEEvi20rocsparse_direction_NS_24const_host_device_scalarIT2_EEPKiS6_PKS3_iiS8_S4_PS3_21rocsparse_index_base_b.kd
    .uniform_work_group_size: 1
    .uses_dynamic_stack: false
    .vgpr_count:     12
    .vgpr_spill_count: 0
    .wavefront_size: 64
  - .args:
      - .offset:         0
        .size:           4
        .value_kind:     by_value
      - .offset:         4
        .size:           4
        .value_kind:     by_value
      - .offset:         8
        .size:           8
        .value_kind:     by_value
      - .actual_access:  read_only
        .address_space:  global
        .offset:         16
        .size:           8
        .value_kind:     global_buffer
      - .actual_access:  read_only
        .address_space:  global
        .offset:         24
        .size:           8
        .value_kind:     global_buffer
      - .actual_access:  read_only
        .address_space:  global
        .offset:         32
        .size:           8
        .value_kind:     global_buffer
      - .offset:         40
        .size:           4
        .value_kind:     by_value
      - .offset:         44
        .size:           4
        .value_kind:     by_value
      - .actual_access:  read_only
        .address_space:  global
        .offset:         48
        .size:           8
        .value_kind:     global_buffer
      - .offset:         56
        .size:           8
        .value_kind:     by_value
      - .address_space:  global
        .offset:         64
        .size:           8
        .value_kind:     global_buffer
      - .offset:         72
        .size:           4
        .value_kind:     by_value
      - .offset:         76
        .size:           1
        .value_kind:     by_value
    .group_segment_fixed_size: 180
    .kernarg_segment_align: 8
    .kernarg_segment_size: 80
    .language:       OpenCL C
    .language_version:
      - 2
      - 0
    .max_flat_workgroup_size: 45
    .name:           _ZN9rocsparseL22gebsrmvn_mxn_16_kernelILj45ELj9ELj5EfEEvi20rocsparse_direction_NS_24const_host_device_scalarIT2_EEPKiS6_PKS3_iiS8_S4_PS3_21rocsparse_index_base_b
    .private_segment_fixed_size: 0
    .sgpr_count:     26
    .sgpr_spill_count: 0
    .symbol:         _ZN9rocsparseL22gebsrmvn_mxn_16_kernelILj45ELj9ELj5EfEEvi20rocsparse_direction_NS_24const_host_device_scalarIT2_EEPKiS6_PKS3_iiS8_S4_PS3_21rocsparse_index_base_b.kd
    .uniform_work_group_size: 1
    .uses_dynamic_stack: false
    .vgpr_count:     13
    .vgpr_spill_count: 0
    .wavefront_size: 64
  - .args:
      - .offset:         0
        .size:           4
        .value_kind:     by_value
      - .offset:         4
        .size:           4
        .value_kind:     by_value
      - .offset:         8
        .size:           8
        .value_kind:     by_value
      - .actual_access:  read_only
        .address_space:  global
        .offset:         16
        .size:           8
        .value_kind:     global_buffer
      - .actual_access:  read_only
        .address_space:  global
        .offset:         24
        .size:           8
        .value_kind:     global_buffer
      - .actual_access:  read_only
        .address_space:  global
        .offset:         32
        .size:           8
        .value_kind:     global_buffer
      - .offset:         40
        .size:           4
        .value_kind:     by_value
      - .offset:         44
        .size:           4
        .value_kind:     by_value
      - .actual_access:  read_only
        .address_space:  global
        .offset:         48
        .size:           8
        .value_kind:     global_buffer
      - .offset:         56
        .size:           8
        .value_kind:     by_value
      - .address_space:  global
        .offset:         64
        .size:           8
        .value_kind:     global_buffer
      - .offset:         72
        .size:           4
        .value_kind:     by_value
      - .offset:         76
        .size:           1
        .value_kind:     by_value
    .group_segment_fixed_size: 216
    .kernarg_segment_align: 8
    .kernarg_segment_size: 80
    .language:       OpenCL C
    .language_version:
      - 2
      - 0
    .max_flat_workgroup_size: 54
    .name:           _ZN9rocsparseL22gebsrmvn_mxn_16_kernelILj54ELj9ELj6EfEEvi20rocsparse_direction_NS_24const_host_device_scalarIT2_EEPKiS6_PKS3_iiS8_S4_PS3_21rocsparse_index_base_b
    .private_segment_fixed_size: 0
    .sgpr_count:     26
    .sgpr_spill_count: 0
    .symbol:         _ZN9rocsparseL22gebsrmvn_mxn_16_kernelILj54ELj9ELj6EfEEvi20rocsparse_direction_NS_24const_host_device_scalarIT2_EEPKiS6_PKS3_iiS8_S4_PS3_21rocsparse_index_base_b.kd
    .uniform_work_group_size: 1
    .uses_dynamic_stack: false
    .vgpr_count:     13
    .vgpr_spill_count: 0
    .wavefront_size: 64
  - .args:
      - .offset:         0
        .size:           4
        .value_kind:     by_value
      - .offset:         4
        .size:           4
        .value_kind:     by_value
      - .offset:         8
        .size:           8
        .value_kind:     by_value
      - .actual_access:  read_only
        .address_space:  global
        .offset:         16
        .size:           8
        .value_kind:     global_buffer
      - .actual_access:  read_only
        .address_space:  global
        .offset:         24
        .size:           8
        .value_kind:     global_buffer
      - .actual_access:  read_only
        .address_space:  global
        .offset:         32
        .size:           8
        .value_kind:     global_buffer
      - .offset:         40
        .size:           4
        .value_kind:     by_value
      - .offset:         44
        .size:           4
        .value_kind:     by_value
      - .actual_access:  read_only
        .address_space:  global
        .offset:         48
        .size:           8
        .value_kind:     global_buffer
      - .offset:         56
        .size:           8
        .value_kind:     by_value
      - .address_space:  global
        .offset:         64
        .size:           8
        .value_kind:     global_buffer
      - .offset:         72
        .size:           4
        .value_kind:     by_value
      - .offset:         76
        .size:           1
        .value_kind:     by_value
    .group_segment_fixed_size: 252
    .kernarg_segment_align: 8
    .kernarg_segment_size: 80
    .language:       OpenCL C
    .language_version:
      - 2
      - 0
    .max_flat_workgroup_size: 63
    .name:           _ZN9rocsparseL22gebsrmvn_mxn_16_kernelILj63ELj9ELj7EfEEvi20rocsparse_direction_NS_24const_host_device_scalarIT2_EEPKiS6_PKS3_iiS8_S4_PS3_21rocsparse_index_base_b
    .private_segment_fixed_size: 0
    .sgpr_count:     26
    .sgpr_spill_count: 0
    .symbol:         _ZN9rocsparseL22gebsrmvn_mxn_16_kernelILj63ELj9ELj7EfEEvi20rocsparse_direction_NS_24const_host_device_scalarIT2_EEPKiS6_PKS3_iiS8_S4_PS3_21rocsparse_index_base_b.kd
    .uniform_work_group_size: 1
    .uses_dynamic_stack: false
    .vgpr_count:     13
    .vgpr_spill_count: 0
    .wavefront_size: 64
  - .args:
      - .offset:         0
        .size:           4
        .value_kind:     by_value
      - .offset:         4
        .size:           4
        .value_kind:     by_value
      - .offset:         8
        .size:           8
        .value_kind:     by_value
      - .actual_access:  read_only
        .address_space:  global
        .offset:         16
        .size:           8
        .value_kind:     global_buffer
      - .actual_access:  read_only
        .address_space:  global
        .offset:         24
        .size:           8
        .value_kind:     global_buffer
      - .actual_access:  read_only
        .address_space:  global
        .offset:         32
        .size:           8
        .value_kind:     global_buffer
      - .offset:         40
        .size:           4
        .value_kind:     by_value
      - .offset:         44
        .size:           4
        .value_kind:     by_value
      - .actual_access:  read_only
        .address_space:  global
        .offset:         48
        .size:           8
        .value_kind:     global_buffer
      - .offset:         56
        .size:           8
        .value_kind:     by_value
      - .address_space:  global
        .offset:         64
        .size:           8
        .value_kind:     global_buffer
      - .offset:         72
        .size:           4
        .value_kind:     by_value
      - .offset:         76
        .size:           1
        .value_kind:     by_value
    .group_segment_fixed_size: 288
    .kernarg_segment_align: 8
    .kernarg_segment_size: 80
    .language:       OpenCL C
    .language_version:
      - 2
      - 0
    .max_flat_workgroup_size: 72
    .name:           _ZN9rocsparseL22gebsrmvn_mxn_16_kernelILj72ELj9ELj8EfEEvi20rocsparse_direction_NS_24const_host_device_scalarIT2_EEPKiS6_PKS3_iiS8_S4_PS3_21rocsparse_index_base_b
    .private_segment_fixed_size: 0
    .sgpr_count:     26
    .sgpr_spill_count: 0
    .symbol:         _ZN9rocsparseL22gebsrmvn_mxn_16_kernelILj72ELj9ELj8EfEEvi20rocsparse_direction_NS_24const_host_device_scalarIT2_EEPKiS6_PKS3_iiS8_S4_PS3_21rocsparse_index_base_b.kd
    .uniform_work_group_size: 1
    .uses_dynamic_stack: false
    .vgpr_count:     12
    .vgpr_spill_count: 0
    .wavefront_size: 64
  - .args:
      - .offset:         0
        .size:           4
        .value_kind:     by_value
      - .offset:         4
        .size:           4
        .value_kind:     by_value
      - .offset:         8
        .size:           8
        .value_kind:     by_value
      - .actual_access:  read_only
        .address_space:  global
        .offset:         16
        .size:           8
        .value_kind:     global_buffer
      - .actual_access:  read_only
        .address_space:  global
        .offset:         24
        .size:           8
        .value_kind:     global_buffer
      - .actual_access:  read_only
        .address_space:  global
        .offset:         32
        .size:           8
        .value_kind:     global_buffer
      - .offset:         40
        .size:           4
        .value_kind:     by_value
      - .offset:         44
        .size:           4
        .value_kind:     by_value
      - .actual_access:  read_only
        .address_space:  global
        .offset:         48
        .size:           8
        .value_kind:     global_buffer
      - .offset:         56
        .size:           8
        .value_kind:     by_value
      - .address_space:  global
        .offset:         64
        .size:           8
        .value_kind:     global_buffer
      - .offset:         72
        .size:           4
        .value_kind:     by_value
      - .offset:         76
        .size:           1
        .value_kind:     by_value
    .group_segment_fixed_size: 0
    .kernarg_segment_align: 8
    .kernarg_segment_size: 80
    .language:       OpenCL C
    .language_version:
      - 2
      - 0
    .max_flat_workgroup_size: 256
    .name:           _ZN9rocsparseL23gebsrmvn_general_kernelILj256ELj16EfEEvi20rocsparse_direction_NS_24const_host_device_scalarIT1_EEPKiS6_PKS3_iiS8_S4_PS3_21rocsparse_index_base_b
    .private_segment_fixed_size: 0
    .sgpr_count:     44
    .sgpr_spill_count: 0
    .symbol:         _ZN9rocsparseL23gebsrmvn_general_kernelILj256ELj16EfEEvi20rocsparse_direction_NS_24const_host_device_scalarIT1_EEPKiS6_PKS3_iiS8_S4_PS3_21rocsparse_index_base_b.kd
    .uniform_work_group_size: 1
    .uses_dynamic_stack: false
    .vgpr_count:     10
    .vgpr_spill_count: 0
    .wavefront_size: 64
  - .args:
      - .offset:         0
        .size:           4
        .value_kind:     by_value
      - .offset:         4
        .size:           4
        .value_kind:     by_value
      - .offset:         8
        .size:           8
        .value_kind:     by_value
      - .actual_access:  read_only
        .address_space:  global
        .offset:         16
        .size:           8
        .value_kind:     global_buffer
      - .actual_access:  read_only
        .address_space:  global
        .offset:         24
        .size:           8
        .value_kind:     global_buffer
      - .actual_access:  read_only
        .address_space:  global
        .offset:         32
        .size:           8
        .value_kind:     global_buffer
      - .offset:         40
        .size:           4
        .value_kind:     by_value
      - .offset:         44
        .size:           4
        .value_kind:     by_value
      - .actual_access:  read_only
        .address_space:  global
        .offset:         48
        .size:           8
        .value_kind:     global_buffer
      - .offset:         56
        .size:           8
        .value_kind:     by_value
      - .address_space:  global
        .offset:         64
        .size:           8
        .value_kind:     global_buffer
      - .offset:         72
        .size:           4
        .value_kind:     by_value
      - .offset:         76
        .size:           1
        .value_kind:     by_value
    .group_segment_fixed_size: 0
    .kernarg_segment_align: 8
    .kernarg_segment_size: 80
    .language:       OpenCL C
    .language_version:
      - 2
      - 0
    .max_flat_workgroup_size: 512
    .name:           _ZN9rocsparseL23gebsrmvn_general_kernelILj512ELj32EfEEvi20rocsparse_direction_NS_24const_host_device_scalarIT1_EEPKiS6_PKS3_iiS8_S4_PS3_21rocsparse_index_base_b
    .private_segment_fixed_size: 0
    .sgpr_count:     44
    .sgpr_spill_count: 0
    .symbol:         _ZN9rocsparseL23gebsrmvn_general_kernelILj512ELj32EfEEvi20rocsparse_direction_NS_24const_host_device_scalarIT1_EEPKiS6_PKS3_iiS8_S4_PS3_21rocsparse_index_base_b.kd
    .uniform_work_group_size: 1
    .uses_dynamic_stack: false
    .vgpr_count:     10
    .vgpr_spill_count: 0
    .wavefront_size: 64
  - .args:
      - .offset:         0
        .size:           4
        .value_kind:     by_value
      - .offset:         4
        .size:           4
        .value_kind:     by_value
      - .offset:         8
        .size:           8
        .value_kind:     by_value
      - .actual_access:  read_only
        .address_space:  global
        .offset:         16
        .size:           8
        .value_kind:     global_buffer
      - .actual_access:  read_only
        .address_space:  global
        .offset:         24
        .size:           8
        .value_kind:     global_buffer
      - .actual_access:  read_only
        .address_space:  global
        .offset:         32
        .size:           8
        .value_kind:     global_buffer
      - .offset:         40
        .size:           4
        .value_kind:     by_value
      - .offset:         44
        .size:           4
        .value_kind:     by_value
      - .actual_access:  read_only
        .address_space:  global
        .offset:         48
        .size:           8
        .value_kind:     global_buffer
      - .offset:         56
        .size:           8
        .value_kind:     by_value
      - .address_space:  global
        .offset:         64
        .size:           8
        .value_kind:     global_buffer
      - .offset:         72
        .size:           4
        .value_kind:     by_value
      - .offset:         76
        .size:           1
        .value_kind:     by_value
    .group_segment_fixed_size: 240
    .kernarg_segment_align: 8
    .kernarg_segment_size: 80
    .language:       OpenCL C
    .language_version:
      - 2
      - 0
    .max_flat_workgroup_size: 60
    .name:           _ZN9rocsparseL22gebsrmvn_mxn_16_kernelILj60ELj10ELj1EfEEvi20rocsparse_direction_NS_24const_host_device_scalarIT2_EEPKiS6_PKS3_iiS8_S4_PS3_21rocsparse_index_base_b
    .private_segment_fixed_size: 0
    .sgpr_count:     24
    .sgpr_spill_count: 0
    .symbol:         _ZN9rocsparseL22gebsrmvn_mxn_16_kernelILj60ELj10ELj1EfEEvi20rocsparse_direction_NS_24const_host_device_scalarIT2_EEPKiS6_PKS3_iiS8_S4_PS3_21rocsparse_index_base_b.kd
    .uniform_work_group_size: 1
    .uses_dynamic_stack: false
    .vgpr_count:     10
    .vgpr_spill_count: 0
    .wavefront_size: 64
  - .args:
      - .offset:         0
        .size:           4
        .value_kind:     by_value
      - .offset:         4
        .size:           4
        .value_kind:     by_value
      - .offset:         8
        .size:           8
        .value_kind:     by_value
      - .actual_access:  read_only
        .address_space:  global
        .offset:         16
        .size:           8
        .value_kind:     global_buffer
      - .actual_access:  read_only
        .address_space:  global
        .offset:         24
        .size:           8
        .value_kind:     global_buffer
      - .actual_access:  read_only
        .address_space:  global
        .offset:         32
        .size:           8
        .value_kind:     global_buffer
      - .offset:         40
        .size:           4
        .value_kind:     by_value
      - .offset:         44
        .size:           4
        .value_kind:     by_value
      - .actual_access:  read_only
        .address_space:  global
        .offset:         48
        .size:           8
        .value_kind:     global_buffer
      - .offset:         56
        .size:           8
        .value_kind:     by_value
      - .address_space:  global
        .offset:         64
        .size:           8
        .value_kind:     global_buffer
      - .offset:         72
        .size:           4
        .value_kind:     by_value
      - .offset:         76
        .size:           1
        .value_kind:     by_value
    .group_segment_fixed_size: 240
    .kernarg_segment_align: 8
    .kernarg_segment_size: 80
    .language:       OpenCL C
    .language_version:
      - 2
      - 0
    .max_flat_workgroup_size: 60
    .name:           _ZN9rocsparseL22gebsrmvn_mxn_16_kernelILj60ELj10ELj2EfEEvi20rocsparse_direction_NS_24const_host_device_scalarIT2_EEPKiS6_PKS3_iiS8_S4_PS3_21rocsparse_index_base_b
    .private_segment_fixed_size: 0
    .sgpr_count:     26
    .sgpr_spill_count: 0
    .symbol:         _ZN9rocsparseL22gebsrmvn_mxn_16_kernelILj60ELj10ELj2EfEEvi20rocsparse_direction_NS_24const_host_device_scalarIT2_EEPKiS6_PKS3_iiS8_S4_PS3_21rocsparse_index_base_b.kd
    .uniform_work_group_size: 1
    .uses_dynamic_stack: false
    .vgpr_count:     12
    .vgpr_spill_count: 0
    .wavefront_size: 64
  - .args:
      - .offset:         0
        .size:           4
        .value_kind:     by_value
      - .offset:         4
        .size:           4
        .value_kind:     by_value
      - .offset:         8
        .size:           8
        .value_kind:     by_value
      - .actual_access:  read_only
        .address_space:  global
        .offset:         16
        .size:           8
        .value_kind:     global_buffer
      - .actual_access:  read_only
        .address_space:  global
        .offset:         24
        .size:           8
        .value_kind:     global_buffer
      - .actual_access:  read_only
        .address_space:  global
        .offset:         32
        .size:           8
        .value_kind:     global_buffer
      - .offset:         40
        .size:           4
        .value_kind:     by_value
      - .offset:         44
        .size:           4
        .value_kind:     by_value
      - .actual_access:  read_only
        .address_space:  global
        .offset:         48
        .size:           8
        .value_kind:     global_buffer
      - .offset:         56
        .size:           8
        .value_kind:     by_value
      - .address_space:  global
        .offset:         64
        .size:           8
        .value_kind:     global_buffer
      - .offset:         72
        .size:           4
        .value_kind:     by_value
      - .offset:         76
        .size:           1
        .value_kind:     by_value
    .group_segment_fixed_size: 240
    .kernarg_segment_align: 8
    .kernarg_segment_size: 80
    .language:       OpenCL C
    .language_version:
      - 2
      - 0
    .max_flat_workgroup_size: 60
    .name:           _ZN9rocsparseL22gebsrmvn_mxn_16_kernelILj60ELj10ELj3EfEEvi20rocsparse_direction_NS_24const_host_device_scalarIT2_EEPKiS6_PKS3_iiS8_S4_PS3_21rocsparse_index_base_b
    .private_segment_fixed_size: 0
    .sgpr_count:     26
    .sgpr_spill_count: 0
    .symbol:         _ZN9rocsparseL22gebsrmvn_mxn_16_kernelILj60ELj10ELj3EfEEvi20rocsparse_direction_NS_24const_host_device_scalarIT2_EEPKiS6_PKS3_iiS8_S4_PS3_21rocsparse_index_base_b.kd
    .uniform_work_group_size: 1
    .uses_dynamic_stack: false
    .vgpr_count:     13
    .vgpr_spill_count: 0
    .wavefront_size: 64
  - .args:
      - .offset:         0
        .size:           4
        .value_kind:     by_value
      - .offset:         4
        .size:           4
        .value_kind:     by_value
      - .offset:         8
        .size:           8
        .value_kind:     by_value
      - .actual_access:  read_only
        .address_space:  global
        .offset:         16
        .size:           8
        .value_kind:     global_buffer
      - .actual_access:  read_only
        .address_space:  global
        .offset:         24
        .size:           8
        .value_kind:     global_buffer
      - .actual_access:  read_only
        .address_space:  global
        .offset:         32
        .size:           8
        .value_kind:     global_buffer
      - .offset:         40
        .size:           4
        .value_kind:     by_value
      - .offset:         44
        .size:           4
        .value_kind:     by_value
      - .actual_access:  read_only
        .address_space:  global
        .offset:         48
        .size:           8
        .value_kind:     global_buffer
      - .offset:         56
        .size:           8
        .value_kind:     by_value
      - .address_space:  global
        .offset:         64
        .size:           8
        .value_kind:     global_buffer
      - .offset:         72
        .size:           4
        .value_kind:     by_value
      - .offset:         76
        .size:           1
        .value_kind:     by_value
    .group_segment_fixed_size: 160
    .kernarg_segment_align: 8
    .kernarg_segment_size: 80
    .language:       OpenCL C
    .language_version:
      - 2
      - 0
    .max_flat_workgroup_size: 40
    .name:           _ZN9rocsparseL22gebsrmvn_mxn_16_kernelILj40ELj10ELj4EfEEvi20rocsparse_direction_NS_24const_host_device_scalarIT2_EEPKiS6_PKS3_iiS8_S4_PS3_21rocsparse_index_base_b
    .private_segment_fixed_size: 0
    .sgpr_count:     26
    .sgpr_spill_count: 0
    .symbol:         _ZN9rocsparseL22gebsrmvn_mxn_16_kernelILj40ELj10ELj4EfEEvi20rocsparse_direction_NS_24const_host_device_scalarIT2_EEPKiS6_PKS3_iiS8_S4_PS3_21rocsparse_index_base_b.kd
    .uniform_work_group_size: 1
    .uses_dynamic_stack: false
    .vgpr_count:     12
    .vgpr_spill_count: 0
    .wavefront_size: 64
  - .args:
      - .offset:         0
        .size:           4
        .value_kind:     by_value
      - .offset:         4
        .size:           4
        .value_kind:     by_value
      - .offset:         8
        .size:           8
        .value_kind:     by_value
      - .actual_access:  read_only
        .address_space:  global
        .offset:         16
        .size:           8
        .value_kind:     global_buffer
      - .actual_access:  read_only
        .address_space:  global
        .offset:         24
        .size:           8
        .value_kind:     global_buffer
      - .actual_access:  read_only
        .address_space:  global
        .offset:         32
        .size:           8
        .value_kind:     global_buffer
      - .offset:         40
        .size:           4
        .value_kind:     by_value
      - .offset:         44
        .size:           4
        .value_kind:     by_value
      - .actual_access:  read_only
        .address_space:  global
        .offset:         48
        .size:           8
        .value_kind:     global_buffer
      - .offset:         56
        .size:           8
        .value_kind:     by_value
      - .address_space:  global
        .offset:         64
        .size:           8
        .value_kind:     global_buffer
      - .offset:         72
        .size:           4
        .value_kind:     by_value
      - .offset:         76
        .size:           1
        .value_kind:     by_value
    .group_segment_fixed_size: 200
    .kernarg_segment_align: 8
    .kernarg_segment_size: 80
    .language:       OpenCL C
    .language_version:
      - 2
      - 0
    .max_flat_workgroup_size: 50
    .name:           _ZN9rocsparseL22gebsrmvn_mxn_16_kernelILj50ELj10ELj5EfEEvi20rocsparse_direction_NS_24const_host_device_scalarIT2_EEPKiS6_PKS3_iiS8_S4_PS3_21rocsparse_index_base_b
    .private_segment_fixed_size: 0
    .sgpr_count:     26
    .sgpr_spill_count: 0
    .symbol:         _ZN9rocsparseL22gebsrmvn_mxn_16_kernelILj50ELj10ELj5EfEEvi20rocsparse_direction_NS_24const_host_device_scalarIT2_EEPKiS6_PKS3_iiS8_S4_PS3_21rocsparse_index_base_b.kd
    .uniform_work_group_size: 1
    .uses_dynamic_stack: false
    .vgpr_count:     13
    .vgpr_spill_count: 0
    .wavefront_size: 64
  - .args:
      - .offset:         0
        .size:           4
        .value_kind:     by_value
      - .offset:         4
        .size:           4
        .value_kind:     by_value
      - .offset:         8
        .size:           8
        .value_kind:     by_value
      - .actual_access:  read_only
        .address_space:  global
        .offset:         16
        .size:           8
        .value_kind:     global_buffer
      - .actual_access:  read_only
        .address_space:  global
        .offset:         24
        .size:           8
        .value_kind:     global_buffer
      - .actual_access:  read_only
        .address_space:  global
        .offset:         32
        .size:           8
        .value_kind:     global_buffer
      - .offset:         40
        .size:           4
        .value_kind:     by_value
      - .offset:         44
        .size:           4
        .value_kind:     by_value
      - .actual_access:  read_only
        .address_space:  global
        .offset:         48
        .size:           8
        .value_kind:     global_buffer
      - .offset:         56
        .size:           8
        .value_kind:     by_value
      - .address_space:  global
        .offset:         64
        .size:           8
        .value_kind:     global_buffer
      - .offset:         72
        .size:           4
        .value_kind:     by_value
      - .offset:         76
        .size:           1
        .value_kind:     by_value
    .group_segment_fixed_size: 240
    .kernarg_segment_align: 8
    .kernarg_segment_size: 80
    .language:       OpenCL C
    .language_version:
      - 2
      - 0
    .max_flat_workgroup_size: 60
    .name:           _ZN9rocsparseL22gebsrmvn_mxn_16_kernelILj60ELj10ELj6EfEEvi20rocsparse_direction_NS_24const_host_device_scalarIT2_EEPKiS6_PKS3_iiS8_S4_PS3_21rocsparse_index_base_b
    .private_segment_fixed_size: 0
    .sgpr_count:     26
    .sgpr_spill_count: 0
    .symbol:         _ZN9rocsparseL22gebsrmvn_mxn_16_kernelILj60ELj10ELj6EfEEvi20rocsparse_direction_NS_24const_host_device_scalarIT2_EEPKiS6_PKS3_iiS8_S4_PS3_21rocsparse_index_base_b.kd
    .uniform_work_group_size: 1
    .uses_dynamic_stack: false
    .vgpr_count:     13
    .vgpr_spill_count: 0
    .wavefront_size: 64
  - .args:
      - .offset:         0
        .size:           4
        .value_kind:     by_value
      - .offset:         4
        .size:           4
        .value_kind:     by_value
      - .offset:         8
        .size:           8
        .value_kind:     by_value
      - .actual_access:  read_only
        .address_space:  global
        .offset:         16
        .size:           8
        .value_kind:     global_buffer
      - .actual_access:  read_only
        .address_space:  global
        .offset:         24
        .size:           8
        .value_kind:     global_buffer
      - .actual_access:  read_only
        .address_space:  global
        .offset:         32
        .size:           8
        .value_kind:     global_buffer
      - .offset:         40
        .size:           4
        .value_kind:     by_value
      - .offset:         44
        .size:           4
        .value_kind:     by_value
      - .actual_access:  read_only
        .address_space:  global
        .offset:         48
        .size:           8
        .value_kind:     global_buffer
      - .offset:         56
        .size:           8
        .value_kind:     by_value
      - .address_space:  global
        .offset:         64
        .size:           8
        .value_kind:     global_buffer
      - .offset:         72
        .size:           4
        .value_kind:     by_value
      - .offset:         76
        .size:           1
        .value_kind:     by_value
    .group_segment_fixed_size: 280
    .kernarg_segment_align: 8
    .kernarg_segment_size: 80
    .language:       OpenCL C
    .language_version:
      - 2
      - 0
    .max_flat_workgroup_size: 70
    .name:           _ZN9rocsparseL22gebsrmvn_mxn_16_kernelILj70ELj10ELj7EfEEvi20rocsparse_direction_NS_24const_host_device_scalarIT2_EEPKiS6_PKS3_iiS8_S4_PS3_21rocsparse_index_base_b
    .private_segment_fixed_size: 0
    .sgpr_count:     26
    .sgpr_spill_count: 0
    .symbol:         _ZN9rocsparseL22gebsrmvn_mxn_16_kernelILj70ELj10ELj7EfEEvi20rocsparse_direction_NS_24const_host_device_scalarIT2_EEPKiS6_PKS3_iiS8_S4_PS3_21rocsparse_index_base_b.kd
    .uniform_work_group_size: 1
    .uses_dynamic_stack: false
    .vgpr_count:     13
    .vgpr_spill_count: 0
    .wavefront_size: 64
  - .args:
      - .offset:         0
        .size:           4
        .value_kind:     by_value
      - .offset:         4
        .size:           4
        .value_kind:     by_value
      - .offset:         8
        .size:           8
        .value_kind:     by_value
      - .actual_access:  read_only
        .address_space:  global
        .offset:         16
        .size:           8
        .value_kind:     global_buffer
      - .actual_access:  read_only
        .address_space:  global
        .offset:         24
        .size:           8
        .value_kind:     global_buffer
      - .actual_access:  read_only
        .address_space:  global
        .offset:         32
        .size:           8
        .value_kind:     global_buffer
      - .offset:         40
        .size:           4
        .value_kind:     by_value
      - .offset:         44
        .size:           4
        .value_kind:     by_value
      - .actual_access:  read_only
        .address_space:  global
        .offset:         48
        .size:           8
        .value_kind:     global_buffer
      - .offset:         56
        .size:           8
        .value_kind:     by_value
      - .address_space:  global
        .offset:         64
        .size:           8
        .value_kind:     global_buffer
      - .offset:         72
        .size:           4
        .value_kind:     by_value
      - .offset:         76
        .size:           1
        .value_kind:     by_value
    .group_segment_fixed_size: 320
    .kernarg_segment_align: 8
    .kernarg_segment_size: 80
    .language:       OpenCL C
    .language_version:
      - 2
      - 0
    .max_flat_workgroup_size: 80
    .name:           _ZN9rocsparseL22gebsrmvn_mxn_16_kernelILj80ELj10ELj8EfEEvi20rocsparse_direction_NS_24const_host_device_scalarIT2_EEPKiS6_PKS3_iiS8_S4_PS3_21rocsparse_index_base_b
    .private_segment_fixed_size: 0
    .sgpr_count:     26
    .sgpr_spill_count: 0
    .symbol:         _ZN9rocsparseL22gebsrmvn_mxn_16_kernelILj80ELj10ELj8EfEEvi20rocsparse_direction_NS_24const_host_device_scalarIT2_EEPKiS6_PKS3_iiS8_S4_PS3_21rocsparse_index_base_b.kd
    .uniform_work_group_size: 1
    .uses_dynamic_stack: false
    .vgpr_count:     12
    .vgpr_spill_count: 0
    .wavefront_size: 64
  - .args:
      - .offset:         0
        .size:           4
        .value_kind:     by_value
      - .offset:         4
        .size:           4
        .value_kind:     by_value
      - .offset:         8
        .size:           8
        .value_kind:     by_value
      - .actual_access:  read_only
        .address_space:  global
        .offset:         16
        .size:           8
        .value_kind:     global_buffer
      - .actual_access:  read_only
        .address_space:  global
        .offset:         24
        .size:           8
        .value_kind:     global_buffer
      - .actual_access:  read_only
        .address_space:  global
        .offset:         32
        .size:           8
        .value_kind:     global_buffer
      - .offset:         40
        .size:           4
        .value_kind:     by_value
      - .offset:         44
        .size:           4
        .value_kind:     by_value
      - .actual_access:  read_only
        .address_space:  global
        .offset:         48
        .size:           8
        .value_kind:     global_buffer
      - .offset:         56
        .size:           8
        .value_kind:     by_value
      - .address_space:  global
        .offset:         64
        .size:           8
        .value_kind:     global_buffer
      - .offset:         72
        .size:           4
        .value_kind:     by_value
      - .offset:         76
        .size:           1
        .value_kind:     by_value
    .group_segment_fixed_size: 220
    .kernarg_segment_align: 8
    .kernarg_segment_size: 80
    .language:       OpenCL C
    .language_version:
      - 2
      - 0
    .max_flat_workgroup_size: 55
    .name:           _ZN9rocsparseL22gebsrmvn_mxn_16_kernelILj55ELj11ELj1EfEEvi20rocsparse_direction_NS_24const_host_device_scalarIT2_EEPKiS6_PKS3_iiS8_S4_PS3_21rocsparse_index_base_b
    .private_segment_fixed_size: 0
    .sgpr_count:     24
    .sgpr_spill_count: 0
    .symbol:         _ZN9rocsparseL22gebsrmvn_mxn_16_kernelILj55ELj11ELj1EfEEvi20rocsparse_direction_NS_24const_host_device_scalarIT2_EEPKiS6_PKS3_iiS8_S4_PS3_21rocsparse_index_base_b.kd
    .uniform_work_group_size: 1
    .uses_dynamic_stack: false
    .vgpr_count:     10
    .vgpr_spill_count: 0
    .wavefront_size: 64
  - .args:
      - .offset:         0
        .size:           4
        .value_kind:     by_value
      - .offset:         4
        .size:           4
        .value_kind:     by_value
      - .offset:         8
        .size:           8
        .value_kind:     by_value
      - .actual_access:  read_only
        .address_space:  global
        .offset:         16
        .size:           8
        .value_kind:     global_buffer
      - .actual_access:  read_only
        .address_space:  global
        .offset:         24
        .size:           8
        .value_kind:     global_buffer
      - .actual_access:  read_only
        .address_space:  global
        .offset:         32
        .size:           8
        .value_kind:     global_buffer
      - .offset:         40
        .size:           4
        .value_kind:     by_value
      - .offset:         44
        .size:           4
        .value_kind:     by_value
      - .actual_access:  read_only
        .address_space:  global
        .offset:         48
        .size:           8
        .value_kind:     global_buffer
      - .offset:         56
        .size:           8
        .value_kind:     by_value
      - .address_space:  global
        .offset:         64
        .size:           8
        .value_kind:     global_buffer
      - .offset:         72
        .size:           4
        .value_kind:     by_value
      - .offset:         76
        .size:           1
        .value_kind:     by_value
    .group_segment_fixed_size: 176
    .kernarg_segment_align: 8
    .kernarg_segment_size: 80
    .language:       OpenCL C
    .language_version:
      - 2
      - 0
    .max_flat_workgroup_size: 44
    .name:           _ZN9rocsparseL22gebsrmvn_mxn_16_kernelILj44ELj11ELj2EfEEvi20rocsparse_direction_NS_24const_host_device_scalarIT2_EEPKiS6_PKS3_iiS8_S4_PS3_21rocsparse_index_base_b
    .private_segment_fixed_size: 0
    .sgpr_count:     26
    .sgpr_spill_count: 0
    .symbol:         _ZN9rocsparseL22gebsrmvn_mxn_16_kernelILj44ELj11ELj2EfEEvi20rocsparse_direction_NS_24const_host_device_scalarIT2_EEPKiS6_PKS3_iiS8_S4_PS3_21rocsparse_index_base_b.kd
    .uniform_work_group_size: 1
    .uses_dynamic_stack: false
    .vgpr_count:     12
    .vgpr_spill_count: 0
    .wavefront_size: 64
  - .args:
      - .offset:         0
        .size:           4
        .value_kind:     by_value
      - .offset:         4
        .size:           4
        .value_kind:     by_value
      - .offset:         8
        .size:           8
        .value_kind:     by_value
      - .actual_access:  read_only
        .address_space:  global
        .offset:         16
        .size:           8
        .value_kind:     global_buffer
      - .actual_access:  read_only
        .address_space:  global
        .offset:         24
        .size:           8
        .value_kind:     global_buffer
      - .actual_access:  read_only
        .address_space:  global
        .offset:         32
        .size:           8
        .value_kind:     global_buffer
      - .offset:         40
        .size:           4
        .value_kind:     by_value
      - .offset:         44
        .size:           4
        .value_kind:     by_value
      - .actual_access:  read_only
        .address_space:  global
        .offset:         48
        .size:           8
        .value_kind:     global_buffer
      - .offset:         56
        .size:           8
        .value_kind:     by_value
      - .address_space:  global
        .offset:         64
        .size:           8
        .value_kind:     global_buffer
      - .offset:         72
        .size:           4
        .value_kind:     by_value
      - .offset:         76
        .size:           1
        .value_kind:     by_value
    .group_segment_fixed_size: 132
    .kernarg_segment_align: 8
    .kernarg_segment_size: 80
    .language:       OpenCL C
    .language_version:
      - 2
      - 0
    .max_flat_workgroup_size: 33
    .name:           _ZN9rocsparseL22gebsrmvn_mxn_16_kernelILj33ELj11ELj3EfEEvi20rocsparse_direction_NS_24const_host_device_scalarIT2_EEPKiS6_PKS3_iiS8_S4_PS3_21rocsparse_index_base_b
    .private_segment_fixed_size: 0
    .sgpr_count:     26
    .sgpr_spill_count: 0
    .symbol:         _ZN9rocsparseL22gebsrmvn_mxn_16_kernelILj33ELj11ELj3EfEEvi20rocsparse_direction_NS_24const_host_device_scalarIT2_EEPKiS6_PKS3_iiS8_S4_PS3_21rocsparse_index_base_b.kd
    .uniform_work_group_size: 1
    .uses_dynamic_stack: false
    .vgpr_count:     13
    .vgpr_spill_count: 0
    .wavefront_size: 64
  - .args:
      - .offset:         0
        .size:           4
        .value_kind:     by_value
      - .offset:         4
        .size:           4
        .value_kind:     by_value
      - .offset:         8
        .size:           8
        .value_kind:     by_value
      - .actual_access:  read_only
        .address_space:  global
        .offset:         16
        .size:           8
        .value_kind:     global_buffer
      - .actual_access:  read_only
        .address_space:  global
        .offset:         24
        .size:           8
        .value_kind:     global_buffer
      - .actual_access:  read_only
        .address_space:  global
        .offset:         32
        .size:           8
        .value_kind:     global_buffer
      - .offset:         40
        .size:           4
        .value_kind:     by_value
      - .offset:         44
        .size:           4
        .value_kind:     by_value
      - .actual_access:  read_only
        .address_space:  global
        .offset:         48
        .size:           8
        .value_kind:     global_buffer
      - .offset:         56
        .size:           8
        .value_kind:     by_value
      - .address_space:  global
        .offset:         64
        .size:           8
        .value_kind:     global_buffer
      - .offset:         72
        .size:           4
        .value_kind:     by_value
      - .offset:         76
        .size:           1
        .value_kind:     by_value
    .group_segment_fixed_size: 176
    .kernarg_segment_align: 8
    .kernarg_segment_size: 80
    .language:       OpenCL C
    .language_version:
      - 2
      - 0
    .max_flat_workgroup_size: 44
    .name:           _ZN9rocsparseL22gebsrmvn_mxn_16_kernelILj44ELj11ELj4EfEEvi20rocsparse_direction_NS_24const_host_device_scalarIT2_EEPKiS6_PKS3_iiS8_S4_PS3_21rocsparse_index_base_b
    .private_segment_fixed_size: 0
    .sgpr_count:     26
    .sgpr_spill_count: 0
    .symbol:         _ZN9rocsparseL22gebsrmvn_mxn_16_kernelILj44ELj11ELj4EfEEvi20rocsparse_direction_NS_24const_host_device_scalarIT2_EEPKiS6_PKS3_iiS8_S4_PS3_21rocsparse_index_base_b.kd
    .uniform_work_group_size: 1
    .uses_dynamic_stack: false
    .vgpr_count:     12
    .vgpr_spill_count: 0
    .wavefront_size: 64
  - .args:
      - .offset:         0
        .size:           4
        .value_kind:     by_value
      - .offset:         4
        .size:           4
        .value_kind:     by_value
      - .offset:         8
        .size:           8
        .value_kind:     by_value
      - .actual_access:  read_only
        .address_space:  global
        .offset:         16
        .size:           8
        .value_kind:     global_buffer
      - .actual_access:  read_only
        .address_space:  global
        .offset:         24
        .size:           8
        .value_kind:     global_buffer
      - .actual_access:  read_only
        .address_space:  global
        .offset:         32
        .size:           8
        .value_kind:     global_buffer
      - .offset:         40
        .size:           4
        .value_kind:     by_value
      - .offset:         44
        .size:           4
        .value_kind:     by_value
      - .actual_access:  read_only
        .address_space:  global
        .offset:         48
        .size:           8
        .value_kind:     global_buffer
      - .offset:         56
        .size:           8
        .value_kind:     by_value
      - .address_space:  global
        .offset:         64
        .size:           8
        .value_kind:     global_buffer
      - .offset:         72
        .size:           4
        .value_kind:     by_value
      - .offset:         76
        .size:           1
        .value_kind:     by_value
    .group_segment_fixed_size: 220
    .kernarg_segment_align: 8
    .kernarg_segment_size: 80
    .language:       OpenCL C
    .language_version:
      - 2
      - 0
    .max_flat_workgroup_size: 55
    .name:           _ZN9rocsparseL22gebsrmvn_mxn_16_kernelILj55ELj11ELj5EfEEvi20rocsparse_direction_NS_24const_host_device_scalarIT2_EEPKiS6_PKS3_iiS8_S4_PS3_21rocsparse_index_base_b
    .private_segment_fixed_size: 0
    .sgpr_count:     26
    .sgpr_spill_count: 0
    .symbol:         _ZN9rocsparseL22gebsrmvn_mxn_16_kernelILj55ELj11ELj5EfEEvi20rocsparse_direction_NS_24const_host_device_scalarIT2_EEPKiS6_PKS3_iiS8_S4_PS3_21rocsparse_index_base_b.kd
    .uniform_work_group_size: 1
    .uses_dynamic_stack: false
    .vgpr_count:     13
    .vgpr_spill_count: 0
    .wavefront_size: 64
  - .args:
      - .offset:         0
        .size:           4
        .value_kind:     by_value
      - .offset:         4
        .size:           4
        .value_kind:     by_value
      - .offset:         8
        .size:           8
        .value_kind:     by_value
      - .actual_access:  read_only
        .address_space:  global
        .offset:         16
        .size:           8
        .value_kind:     global_buffer
      - .actual_access:  read_only
        .address_space:  global
        .offset:         24
        .size:           8
        .value_kind:     global_buffer
      - .actual_access:  read_only
        .address_space:  global
        .offset:         32
        .size:           8
        .value_kind:     global_buffer
      - .offset:         40
        .size:           4
        .value_kind:     by_value
      - .offset:         44
        .size:           4
        .value_kind:     by_value
      - .actual_access:  read_only
        .address_space:  global
        .offset:         48
        .size:           8
        .value_kind:     global_buffer
      - .offset:         56
        .size:           8
        .value_kind:     by_value
      - .address_space:  global
        .offset:         64
        .size:           8
        .value_kind:     global_buffer
      - .offset:         72
        .size:           4
        .value_kind:     by_value
      - .offset:         76
        .size:           1
        .value_kind:     by_value
    .group_segment_fixed_size: 264
    .kernarg_segment_align: 8
    .kernarg_segment_size: 80
    .language:       OpenCL C
    .language_version:
      - 2
      - 0
    .max_flat_workgroup_size: 66
    .name:           _ZN9rocsparseL22gebsrmvn_mxn_16_kernelILj66ELj11ELj6EfEEvi20rocsparse_direction_NS_24const_host_device_scalarIT2_EEPKiS6_PKS3_iiS8_S4_PS3_21rocsparse_index_base_b
    .private_segment_fixed_size: 0
    .sgpr_count:     26
    .sgpr_spill_count: 0
    .symbol:         _ZN9rocsparseL22gebsrmvn_mxn_16_kernelILj66ELj11ELj6EfEEvi20rocsparse_direction_NS_24const_host_device_scalarIT2_EEPKiS6_PKS3_iiS8_S4_PS3_21rocsparse_index_base_b.kd
    .uniform_work_group_size: 1
    .uses_dynamic_stack: false
    .vgpr_count:     13
    .vgpr_spill_count: 0
    .wavefront_size: 64
  - .args:
      - .offset:         0
        .size:           4
        .value_kind:     by_value
      - .offset:         4
        .size:           4
        .value_kind:     by_value
      - .offset:         8
        .size:           8
        .value_kind:     by_value
      - .actual_access:  read_only
        .address_space:  global
        .offset:         16
        .size:           8
        .value_kind:     global_buffer
      - .actual_access:  read_only
        .address_space:  global
        .offset:         24
        .size:           8
        .value_kind:     global_buffer
      - .actual_access:  read_only
        .address_space:  global
        .offset:         32
        .size:           8
        .value_kind:     global_buffer
      - .offset:         40
        .size:           4
        .value_kind:     by_value
      - .offset:         44
        .size:           4
        .value_kind:     by_value
      - .actual_access:  read_only
        .address_space:  global
        .offset:         48
        .size:           8
        .value_kind:     global_buffer
      - .offset:         56
        .size:           8
        .value_kind:     by_value
      - .address_space:  global
        .offset:         64
        .size:           8
        .value_kind:     global_buffer
      - .offset:         72
        .size:           4
        .value_kind:     by_value
      - .offset:         76
        .size:           1
        .value_kind:     by_value
    .group_segment_fixed_size: 308
    .kernarg_segment_align: 8
    .kernarg_segment_size: 80
    .language:       OpenCL C
    .language_version:
      - 2
      - 0
    .max_flat_workgroup_size: 77
    .name:           _ZN9rocsparseL22gebsrmvn_mxn_16_kernelILj77ELj11ELj7EfEEvi20rocsparse_direction_NS_24const_host_device_scalarIT2_EEPKiS6_PKS3_iiS8_S4_PS3_21rocsparse_index_base_b
    .private_segment_fixed_size: 0
    .sgpr_count:     26
    .sgpr_spill_count: 0
    .symbol:         _ZN9rocsparseL22gebsrmvn_mxn_16_kernelILj77ELj11ELj7EfEEvi20rocsparse_direction_NS_24const_host_device_scalarIT2_EEPKiS6_PKS3_iiS8_S4_PS3_21rocsparse_index_base_b.kd
    .uniform_work_group_size: 1
    .uses_dynamic_stack: false
    .vgpr_count:     13
    .vgpr_spill_count: 0
    .wavefront_size: 64
  - .args:
      - .offset:         0
        .size:           4
        .value_kind:     by_value
      - .offset:         4
        .size:           4
        .value_kind:     by_value
      - .offset:         8
        .size:           8
        .value_kind:     by_value
      - .actual_access:  read_only
        .address_space:  global
        .offset:         16
        .size:           8
        .value_kind:     global_buffer
      - .actual_access:  read_only
        .address_space:  global
        .offset:         24
        .size:           8
        .value_kind:     global_buffer
      - .actual_access:  read_only
        .address_space:  global
        .offset:         32
        .size:           8
        .value_kind:     global_buffer
      - .offset:         40
        .size:           4
        .value_kind:     by_value
      - .offset:         44
        .size:           4
        .value_kind:     by_value
      - .actual_access:  read_only
        .address_space:  global
        .offset:         48
        .size:           8
        .value_kind:     global_buffer
      - .offset:         56
        .size:           8
        .value_kind:     by_value
      - .address_space:  global
        .offset:         64
        .size:           8
        .value_kind:     global_buffer
      - .offset:         72
        .size:           4
        .value_kind:     by_value
      - .offset:         76
        .size:           1
        .value_kind:     by_value
    .group_segment_fixed_size: 352
    .kernarg_segment_align: 8
    .kernarg_segment_size: 80
    .language:       OpenCL C
    .language_version:
      - 2
      - 0
    .max_flat_workgroup_size: 88
    .name:           _ZN9rocsparseL22gebsrmvn_mxn_16_kernelILj88ELj11ELj8EfEEvi20rocsparse_direction_NS_24const_host_device_scalarIT2_EEPKiS6_PKS3_iiS8_S4_PS3_21rocsparse_index_base_b
    .private_segment_fixed_size: 0
    .sgpr_count:     26
    .sgpr_spill_count: 0
    .symbol:         _ZN9rocsparseL22gebsrmvn_mxn_16_kernelILj88ELj11ELj8EfEEvi20rocsparse_direction_NS_24const_host_device_scalarIT2_EEPKiS6_PKS3_iiS8_S4_PS3_21rocsparse_index_base_b.kd
    .uniform_work_group_size: 1
    .uses_dynamic_stack: false
    .vgpr_count:     12
    .vgpr_spill_count: 0
    .wavefront_size: 64
  - .args:
      - .offset:         0
        .size:           4
        .value_kind:     by_value
      - .offset:         4
        .size:           4
        .value_kind:     by_value
      - .offset:         8
        .size:           8
        .value_kind:     by_value
      - .actual_access:  read_only
        .address_space:  global
        .offset:         16
        .size:           8
        .value_kind:     global_buffer
      - .actual_access:  read_only
        .address_space:  global
        .offset:         24
        .size:           8
        .value_kind:     global_buffer
      - .actual_access:  read_only
        .address_space:  global
        .offset:         32
        .size:           8
        .value_kind:     global_buffer
      - .offset:         40
        .size:           4
        .value_kind:     by_value
      - .offset:         44
        .size:           4
        .value_kind:     by_value
      - .actual_access:  read_only
        .address_space:  global
        .offset:         48
        .size:           8
        .value_kind:     global_buffer
      - .offset:         56
        .size:           8
        .value_kind:     by_value
      - .address_space:  global
        .offset:         64
        .size:           8
        .value_kind:     global_buffer
      - .offset:         72
        .size:           4
        .value_kind:     by_value
      - .offset:         76
        .size:           1
        .value_kind:     by_value
    .group_segment_fixed_size: 240
    .kernarg_segment_align: 8
    .kernarg_segment_size: 80
    .language:       OpenCL C
    .language_version:
      - 2
      - 0
    .max_flat_workgroup_size: 60
    .name:           _ZN9rocsparseL22gebsrmvn_mxn_16_kernelILj60ELj12ELj1EfEEvi20rocsparse_direction_NS_24const_host_device_scalarIT2_EEPKiS6_PKS3_iiS8_S4_PS3_21rocsparse_index_base_b
    .private_segment_fixed_size: 0
    .sgpr_count:     24
    .sgpr_spill_count: 0
    .symbol:         _ZN9rocsparseL22gebsrmvn_mxn_16_kernelILj60ELj12ELj1EfEEvi20rocsparse_direction_NS_24const_host_device_scalarIT2_EEPKiS6_PKS3_iiS8_S4_PS3_21rocsparse_index_base_b.kd
    .uniform_work_group_size: 1
    .uses_dynamic_stack: false
    .vgpr_count:     10
    .vgpr_spill_count: 0
    .wavefront_size: 64
  - .args:
      - .offset:         0
        .size:           4
        .value_kind:     by_value
      - .offset:         4
        .size:           4
        .value_kind:     by_value
      - .offset:         8
        .size:           8
        .value_kind:     by_value
      - .actual_access:  read_only
        .address_space:  global
        .offset:         16
        .size:           8
        .value_kind:     global_buffer
      - .actual_access:  read_only
        .address_space:  global
        .offset:         24
        .size:           8
        .value_kind:     global_buffer
      - .actual_access:  read_only
        .address_space:  global
        .offset:         32
        .size:           8
        .value_kind:     global_buffer
      - .offset:         40
        .size:           4
        .value_kind:     by_value
      - .offset:         44
        .size:           4
        .value_kind:     by_value
      - .actual_access:  read_only
        .address_space:  global
        .offset:         48
        .size:           8
        .value_kind:     global_buffer
      - .offset:         56
        .size:           8
        .value_kind:     by_value
      - .address_space:  global
        .offset:         64
        .size:           8
        .value_kind:     global_buffer
      - .offset:         72
        .size:           4
        .value_kind:     by_value
      - .offset:         76
        .size:           1
        .value_kind:     by_value
    .group_segment_fixed_size: 192
    .kernarg_segment_align: 8
    .kernarg_segment_size: 80
    .language:       OpenCL C
    .language_version:
      - 2
      - 0
    .max_flat_workgroup_size: 48
    .name:           _ZN9rocsparseL22gebsrmvn_mxn_16_kernelILj48ELj12ELj2EfEEvi20rocsparse_direction_NS_24const_host_device_scalarIT2_EEPKiS6_PKS3_iiS8_S4_PS3_21rocsparse_index_base_b
    .private_segment_fixed_size: 0
    .sgpr_count:     26
    .sgpr_spill_count: 0
    .symbol:         _ZN9rocsparseL22gebsrmvn_mxn_16_kernelILj48ELj12ELj2EfEEvi20rocsparse_direction_NS_24const_host_device_scalarIT2_EEPKiS6_PKS3_iiS8_S4_PS3_21rocsparse_index_base_b.kd
    .uniform_work_group_size: 1
    .uses_dynamic_stack: false
    .vgpr_count:     12
    .vgpr_spill_count: 0
    .wavefront_size: 64
  - .args:
      - .offset:         0
        .size:           4
        .value_kind:     by_value
      - .offset:         4
        .size:           4
        .value_kind:     by_value
      - .offset:         8
        .size:           8
        .value_kind:     by_value
      - .actual_access:  read_only
        .address_space:  global
        .offset:         16
        .size:           8
        .value_kind:     global_buffer
      - .actual_access:  read_only
        .address_space:  global
        .offset:         24
        .size:           8
        .value_kind:     global_buffer
      - .actual_access:  read_only
        .address_space:  global
        .offset:         32
        .size:           8
        .value_kind:     global_buffer
      - .offset:         40
        .size:           4
        .value_kind:     by_value
      - .offset:         44
        .size:           4
        .value_kind:     by_value
      - .actual_access:  read_only
        .address_space:  global
        .offset:         48
        .size:           8
        .value_kind:     global_buffer
      - .offset:         56
        .size:           8
        .value_kind:     by_value
      - .address_space:  global
        .offset:         64
        .size:           8
        .value_kind:     global_buffer
      - .offset:         72
        .size:           4
        .value_kind:     by_value
      - .offset:         76
        .size:           1
        .value_kind:     by_value
    .group_segment_fixed_size: 144
    .kernarg_segment_align: 8
    .kernarg_segment_size: 80
    .language:       OpenCL C
    .language_version:
      - 2
      - 0
    .max_flat_workgroup_size: 48
    .name:           _ZN9rocsparseL22gebsrmvn_mxn_16_kernelILj48ELj12ELj3EfEEvi20rocsparse_direction_NS_24const_host_device_scalarIT2_EEPKiS6_PKS3_iiS8_S4_PS3_21rocsparse_index_base_b
    .private_segment_fixed_size: 0
    .sgpr_count:     26
    .sgpr_spill_count: 0
    .symbol:         _ZN9rocsparseL22gebsrmvn_mxn_16_kernelILj48ELj12ELj3EfEEvi20rocsparse_direction_NS_24const_host_device_scalarIT2_EEPKiS6_PKS3_iiS8_S4_PS3_21rocsparse_index_base_b.kd
    .uniform_work_group_size: 1
    .uses_dynamic_stack: false
    .vgpr_count:     13
    .vgpr_spill_count: 0
    .wavefront_size: 64
  - .args:
      - .offset:         0
        .size:           4
        .value_kind:     by_value
      - .offset:         4
        .size:           4
        .value_kind:     by_value
      - .offset:         8
        .size:           8
        .value_kind:     by_value
      - .actual_access:  read_only
        .address_space:  global
        .offset:         16
        .size:           8
        .value_kind:     global_buffer
      - .actual_access:  read_only
        .address_space:  global
        .offset:         24
        .size:           8
        .value_kind:     global_buffer
      - .actual_access:  read_only
        .address_space:  global
        .offset:         32
        .size:           8
        .value_kind:     global_buffer
      - .offset:         40
        .size:           4
        .value_kind:     by_value
      - .offset:         44
        .size:           4
        .value_kind:     by_value
      - .actual_access:  read_only
        .address_space:  global
        .offset:         48
        .size:           8
        .value_kind:     global_buffer
      - .offset:         56
        .size:           8
        .value_kind:     by_value
      - .address_space:  global
        .offset:         64
        .size:           8
        .value_kind:     global_buffer
      - .offset:         72
        .size:           4
        .value_kind:     by_value
      - .offset:         76
        .size:           1
        .value_kind:     by_value
    .group_segment_fixed_size: 192
    .kernarg_segment_align: 8
    .kernarg_segment_size: 80
    .language:       OpenCL C
    .language_version:
      - 2
      - 0
    .max_flat_workgroup_size: 60
    .name:           _ZN9rocsparseL22gebsrmvn_mxn_16_kernelILj60ELj12ELj4EfEEvi20rocsparse_direction_NS_24const_host_device_scalarIT2_EEPKiS6_PKS3_iiS8_S4_PS3_21rocsparse_index_base_b
    .private_segment_fixed_size: 0
    .sgpr_count:     26
    .sgpr_spill_count: 0
    .symbol:         _ZN9rocsparseL22gebsrmvn_mxn_16_kernelILj60ELj12ELj4EfEEvi20rocsparse_direction_NS_24const_host_device_scalarIT2_EEPKiS6_PKS3_iiS8_S4_PS3_21rocsparse_index_base_b.kd
    .uniform_work_group_size: 1
    .uses_dynamic_stack: false
    .vgpr_count:     12
    .vgpr_spill_count: 0
    .wavefront_size: 64
  - .args:
      - .offset:         0
        .size:           4
        .value_kind:     by_value
      - .offset:         4
        .size:           4
        .value_kind:     by_value
      - .offset:         8
        .size:           8
        .value_kind:     by_value
      - .actual_access:  read_only
        .address_space:  global
        .offset:         16
        .size:           8
        .value_kind:     global_buffer
      - .actual_access:  read_only
        .address_space:  global
        .offset:         24
        .size:           8
        .value_kind:     global_buffer
      - .actual_access:  read_only
        .address_space:  global
        .offset:         32
        .size:           8
        .value_kind:     global_buffer
      - .offset:         40
        .size:           4
        .value_kind:     by_value
      - .offset:         44
        .size:           4
        .value_kind:     by_value
      - .actual_access:  read_only
        .address_space:  global
        .offset:         48
        .size:           8
        .value_kind:     global_buffer
      - .offset:         56
        .size:           8
        .value_kind:     by_value
      - .address_space:  global
        .offset:         64
        .size:           8
        .value_kind:     global_buffer
      - .offset:         72
        .size:           4
        .value_kind:     by_value
      - .offset:         76
        .size:           1
        .value_kind:     by_value
    .group_segment_fixed_size: 240
    .kernarg_segment_align: 8
    .kernarg_segment_size: 80
    .language:       OpenCL C
    .language_version:
      - 2
      - 0
    .max_flat_workgroup_size: 60
    .name:           _ZN9rocsparseL22gebsrmvn_mxn_16_kernelILj60ELj12ELj5EfEEvi20rocsparse_direction_NS_24const_host_device_scalarIT2_EEPKiS6_PKS3_iiS8_S4_PS3_21rocsparse_index_base_b
    .private_segment_fixed_size: 0
    .sgpr_count:     26
    .sgpr_spill_count: 0
    .symbol:         _ZN9rocsparseL22gebsrmvn_mxn_16_kernelILj60ELj12ELj5EfEEvi20rocsparse_direction_NS_24const_host_device_scalarIT2_EEPKiS6_PKS3_iiS8_S4_PS3_21rocsparse_index_base_b.kd
    .uniform_work_group_size: 1
    .uses_dynamic_stack: false
    .vgpr_count:     13
    .vgpr_spill_count: 0
    .wavefront_size: 64
  - .args:
      - .offset:         0
        .size:           4
        .value_kind:     by_value
      - .offset:         4
        .size:           4
        .value_kind:     by_value
      - .offset:         8
        .size:           8
        .value_kind:     by_value
      - .actual_access:  read_only
        .address_space:  global
        .offset:         16
        .size:           8
        .value_kind:     global_buffer
      - .actual_access:  read_only
        .address_space:  global
        .offset:         24
        .size:           8
        .value_kind:     global_buffer
      - .actual_access:  read_only
        .address_space:  global
        .offset:         32
        .size:           8
        .value_kind:     global_buffer
      - .offset:         40
        .size:           4
        .value_kind:     by_value
      - .offset:         44
        .size:           4
        .value_kind:     by_value
      - .actual_access:  read_only
        .address_space:  global
        .offset:         48
        .size:           8
        .value_kind:     global_buffer
      - .offset:         56
        .size:           8
        .value_kind:     by_value
      - .address_space:  global
        .offset:         64
        .size:           8
        .value_kind:     global_buffer
      - .offset:         72
        .size:           4
        .value_kind:     by_value
      - .offset:         76
        .size:           1
        .value_kind:     by_value
    .group_segment_fixed_size: 288
    .kernarg_segment_align: 8
    .kernarg_segment_size: 80
    .language:       OpenCL C
    .language_version:
      - 2
      - 0
    .max_flat_workgroup_size: 72
    .name:           _ZN9rocsparseL22gebsrmvn_mxn_16_kernelILj72ELj12ELj6EfEEvi20rocsparse_direction_NS_24const_host_device_scalarIT2_EEPKiS6_PKS3_iiS8_S4_PS3_21rocsparse_index_base_b
    .private_segment_fixed_size: 0
    .sgpr_count:     26
    .sgpr_spill_count: 0
    .symbol:         _ZN9rocsparseL22gebsrmvn_mxn_16_kernelILj72ELj12ELj6EfEEvi20rocsparse_direction_NS_24const_host_device_scalarIT2_EEPKiS6_PKS3_iiS8_S4_PS3_21rocsparse_index_base_b.kd
    .uniform_work_group_size: 1
    .uses_dynamic_stack: false
    .vgpr_count:     13
    .vgpr_spill_count: 0
    .wavefront_size: 64
  - .args:
      - .offset:         0
        .size:           4
        .value_kind:     by_value
      - .offset:         4
        .size:           4
        .value_kind:     by_value
      - .offset:         8
        .size:           8
        .value_kind:     by_value
      - .actual_access:  read_only
        .address_space:  global
        .offset:         16
        .size:           8
        .value_kind:     global_buffer
      - .actual_access:  read_only
        .address_space:  global
        .offset:         24
        .size:           8
        .value_kind:     global_buffer
      - .actual_access:  read_only
        .address_space:  global
        .offset:         32
        .size:           8
        .value_kind:     global_buffer
      - .offset:         40
        .size:           4
        .value_kind:     by_value
      - .offset:         44
        .size:           4
        .value_kind:     by_value
      - .actual_access:  read_only
        .address_space:  global
        .offset:         48
        .size:           8
        .value_kind:     global_buffer
      - .offset:         56
        .size:           8
        .value_kind:     by_value
      - .address_space:  global
        .offset:         64
        .size:           8
        .value_kind:     global_buffer
      - .offset:         72
        .size:           4
        .value_kind:     by_value
      - .offset:         76
        .size:           1
        .value_kind:     by_value
    .group_segment_fixed_size: 336
    .kernarg_segment_align: 8
    .kernarg_segment_size: 80
    .language:       OpenCL C
    .language_version:
      - 2
      - 0
    .max_flat_workgroup_size: 84
    .name:           _ZN9rocsparseL22gebsrmvn_mxn_16_kernelILj84ELj12ELj7EfEEvi20rocsparse_direction_NS_24const_host_device_scalarIT2_EEPKiS6_PKS3_iiS8_S4_PS3_21rocsparse_index_base_b
    .private_segment_fixed_size: 0
    .sgpr_count:     26
    .sgpr_spill_count: 0
    .symbol:         _ZN9rocsparseL22gebsrmvn_mxn_16_kernelILj84ELj12ELj7EfEEvi20rocsparse_direction_NS_24const_host_device_scalarIT2_EEPKiS6_PKS3_iiS8_S4_PS3_21rocsparse_index_base_b.kd
    .uniform_work_group_size: 1
    .uses_dynamic_stack: false
    .vgpr_count:     13
    .vgpr_spill_count: 0
    .wavefront_size: 64
  - .args:
      - .offset:         0
        .size:           4
        .value_kind:     by_value
      - .offset:         4
        .size:           4
        .value_kind:     by_value
      - .offset:         8
        .size:           8
        .value_kind:     by_value
      - .actual_access:  read_only
        .address_space:  global
        .offset:         16
        .size:           8
        .value_kind:     global_buffer
      - .actual_access:  read_only
        .address_space:  global
        .offset:         24
        .size:           8
        .value_kind:     global_buffer
      - .actual_access:  read_only
        .address_space:  global
        .offset:         32
        .size:           8
        .value_kind:     global_buffer
      - .offset:         40
        .size:           4
        .value_kind:     by_value
      - .offset:         44
        .size:           4
        .value_kind:     by_value
      - .actual_access:  read_only
        .address_space:  global
        .offset:         48
        .size:           8
        .value_kind:     global_buffer
      - .offset:         56
        .size:           8
        .value_kind:     by_value
      - .address_space:  global
        .offset:         64
        .size:           8
        .value_kind:     global_buffer
      - .offset:         72
        .size:           4
        .value_kind:     by_value
      - .offset:         76
        .size:           1
        .value_kind:     by_value
    .group_segment_fixed_size: 384
    .kernarg_segment_align: 8
    .kernarg_segment_size: 80
    .language:       OpenCL C
    .language_version:
      - 2
      - 0
    .max_flat_workgroup_size: 96
    .name:           _ZN9rocsparseL22gebsrmvn_mxn_16_kernelILj96ELj12ELj8EfEEvi20rocsparse_direction_NS_24const_host_device_scalarIT2_EEPKiS6_PKS3_iiS8_S4_PS3_21rocsparse_index_base_b
    .private_segment_fixed_size: 0
    .sgpr_count:     26
    .sgpr_spill_count: 0
    .symbol:         _ZN9rocsparseL22gebsrmvn_mxn_16_kernelILj96ELj12ELj8EfEEvi20rocsparse_direction_NS_24const_host_device_scalarIT2_EEPKiS6_PKS3_iiS8_S4_PS3_21rocsparse_index_base_b.kd
    .uniform_work_group_size: 1
    .uses_dynamic_stack: false
    .vgpr_count:     12
    .vgpr_spill_count: 0
    .wavefront_size: 64
  - .args:
      - .offset:         0
        .size:           4
        .value_kind:     by_value
      - .offset:         4
        .size:           4
        .value_kind:     by_value
      - .offset:         8
        .size:           8
        .value_kind:     by_value
      - .actual_access:  read_only
        .address_space:  global
        .offset:         16
        .size:           8
        .value_kind:     global_buffer
      - .actual_access:  read_only
        .address_space:  global
        .offset:         24
        .size:           8
        .value_kind:     global_buffer
      - .actual_access:  read_only
        .address_space:  global
        .offset:         32
        .size:           8
        .value_kind:     global_buffer
      - .offset:         40
        .size:           4
        .value_kind:     by_value
      - .offset:         44
        .size:           4
        .value_kind:     by_value
      - .actual_access:  read_only
        .address_space:  global
        .offset:         48
        .size:           8
        .value_kind:     global_buffer
      - .offset:         56
        .size:           8
        .value_kind:     by_value
      - .address_space:  global
        .offset:         64
        .size:           8
        .value_kind:     global_buffer
      - .offset:         72
        .size:           4
        .value_kind:     by_value
      - .offset:         76
        .size:           1
        .value_kind:     by_value
    .group_segment_fixed_size: 504
    .kernarg_segment_align: 8
    .kernarg_segment_size: 80
    .language:       OpenCL C
    .language_version:
      - 2
      - 0
    .max_flat_workgroup_size: 63
    .name:           _ZN9rocsparseL22gebsrmvn_mxn_16_kernelILj63ELj9ELj1EdEEvi20rocsparse_direction_NS_24const_host_device_scalarIT2_EEPKiS6_PKS3_iiS8_S4_PS3_21rocsparse_index_base_b
    .private_segment_fixed_size: 0
    .sgpr_count:     20
    .sgpr_spill_count: 0
    .symbol:         _ZN9rocsparseL22gebsrmvn_mxn_16_kernelILj63ELj9ELj1EdEEvi20rocsparse_direction_NS_24const_host_device_scalarIT2_EEPKiS6_PKS3_iiS8_S4_PS3_21rocsparse_index_base_b.kd
    .uniform_work_group_size: 1
    .uses_dynamic_stack: false
    .vgpr_count:     15
    .vgpr_spill_count: 0
    .wavefront_size: 64
  - .args:
      - .offset:         0
        .size:           4
        .value_kind:     by_value
      - .offset:         4
        .size:           4
        .value_kind:     by_value
      - .offset:         8
        .size:           8
        .value_kind:     by_value
      - .actual_access:  read_only
        .address_space:  global
        .offset:         16
        .size:           8
        .value_kind:     global_buffer
      - .actual_access:  read_only
        .address_space:  global
        .offset:         24
        .size:           8
        .value_kind:     global_buffer
      - .actual_access:  read_only
        .address_space:  global
        .offset:         32
        .size:           8
        .value_kind:     global_buffer
      - .offset:         40
        .size:           4
        .value_kind:     by_value
      - .offset:         44
        .size:           4
        .value_kind:     by_value
      - .actual_access:  read_only
        .address_space:  global
        .offset:         48
        .size:           8
        .value_kind:     global_buffer
      - .offset:         56
        .size:           8
        .value_kind:     by_value
      - .address_space:  global
        .offset:         64
        .size:           8
        .value_kind:     global_buffer
      - .offset:         72
        .size:           4
        .value_kind:     by_value
      - .offset:         76
        .size:           1
        .value_kind:     by_value
    .group_segment_fixed_size: 432
    .kernarg_segment_align: 8
    .kernarg_segment_size: 80
    .language:       OpenCL C
    .language_version:
      - 2
      - 0
    .max_flat_workgroup_size: 54
    .name:           _ZN9rocsparseL22gebsrmvn_mxn_16_kernelILj54ELj9ELj2EdEEvi20rocsparse_direction_NS_24const_host_device_scalarIT2_EEPKiS6_PKS3_iiS8_S4_PS3_21rocsparse_index_base_b
    .private_segment_fixed_size: 0
    .sgpr_count:     22
    .sgpr_spill_count: 0
    .symbol:         _ZN9rocsparseL22gebsrmvn_mxn_16_kernelILj54ELj9ELj2EdEEvi20rocsparse_direction_NS_24const_host_device_scalarIT2_EEPKiS6_PKS3_iiS8_S4_PS3_21rocsparse_index_base_b.kd
    .uniform_work_group_size: 1
    .uses_dynamic_stack: false
    .vgpr_count:     17
    .vgpr_spill_count: 0
    .wavefront_size: 64
  - .args:
      - .offset:         0
        .size:           4
        .value_kind:     by_value
      - .offset:         4
        .size:           4
        .value_kind:     by_value
      - .offset:         8
        .size:           8
        .value_kind:     by_value
      - .actual_access:  read_only
        .address_space:  global
        .offset:         16
        .size:           8
        .value_kind:     global_buffer
      - .actual_access:  read_only
        .address_space:  global
        .offset:         24
        .size:           8
        .value_kind:     global_buffer
      - .actual_access:  read_only
        .address_space:  global
        .offset:         32
        .size:           8
        .value_kind:     global_buffer
      - .offset:         40
        .size:           4
        .value_kind:     by_value
      - .offset:         44
        .size:           4
        .value_kind:     by_value
      - .actual_access:  read_only
        .address_space:  global
        .offset:         48
        .size:           8
        .value_kind:     global_buffer
      - .offset:         56
        .size:           8
        .value_kind:     by_value
      - .address_space:  global
        .offset:         64
        .size:           8
        .value_kind:     global_buffer
      - .offset:         72
        .size:           4
        .value_kind:     by_value
      - .offset:         76
        .size:           1
        .value_kind:     by_value
    .group_segment_fixed_size: 432
    .kernarg_segment_align: 8
    .kernarg_segment_size: 80
    .language:       OpenCL C
    .language_version:
      - 2
      - 0
    .max_flat_workgroup_size: 54
    .name:           _ZN9rocsparseL22gebsrmvn_mxn_16_kernelILj54ELj9ELj3EdEEvi20rocsparse_direction_NS_24const_host_device_scalarIT2_EEPKiS6_PKS3_iiS8_S4_PS3_21rocsparse_index_base_b
    .private_segment_fixed_size: 0
    .sgpr_count:     22
    .sgpr_spill_count: 0
    .symbol:         _ZN9rocsparseL22gebsrmvn_mxn_16_kernelILj54ELj9ELj3EdEEvi20rocsparse_direction_NS_24const_host_device_scalarIT2_EEPKiS6_PKS3_iiS8_S4_PS3_21rocsparse_index_base_b.kd
    .uniform_work_group_size: 1
    .uses_dynamic_stack: false
    .vgpr_count:     18
    .vgpr_spill_count: 0
    .wavefront_size: 64
  - .args:
      - .offset:         0
        .size:           4
        .value_kind:     by_value
      - .offset:         4
        .size:           4
        .value_kind:     by_value
      - .offset:         8
        .size:           8
        .value_kind:     by_value
      - .actual_access:  read_only
        .address_space:  global
        .offset:         16
        .size:           8
        .value_kind:     global_buffer
      - .actual_access:  read_only
        .address_space:  global
        .offset:         24
        .size:           8
        .value_kind:     global_buffer
      - .actual_access:  read_only
        .address_space:  global
        .offset:         32
        .size:           8
        .value_kind:     global_buffer
      - .offset:         40
        .size:           4
        .value_kind:     by_value
      - .offset:         44
        .size:           4
        .value_kind:     by_value
      - .actual_access:  read_only
        .address_space:  global
        .offset:         48
        .size:           8
        .value_kind:     global_buffer
      - .offset:         56
        .size:           8
        .value_kind:     by_value
      - .address_space:  global
        .offset:         64
        .size:           8
        .value_kind:     global_buffer
      - .offset:         72
        .size:           4
        .value_kind:     by_value
      - .offset:         76
        .size:           1
        .value_kind:     by_value
    .group_segment_fixed_size: 288
    .kernarg_segment_align: 8
    .kernarg_segment_size: 80
    .language:       OpenCL C
    .language_version:
      - 2
      - 0
    .max_flat_workgroup_size: 36
    .name:           _ZN9rocsparseL22gebsrmvn_mxn_16_kernelILj36ELj9ELj4EdEEvi20rocsparse_direction_NS_24const_host_device_scalarIT2_EEPKiS6_PKS3_iiS8_S4_PS3_21rocsparse_index_base_b
    .private_segment_fixed_size: 0
    .sgpr_count:     22
    .sgpr_spill_count: 0
    .symbol:         _ZN9rocsparseL22gebsrmvn_mxn_16_kernelILj36ELj9ELj4EdEEvi20rocsparse_direction_NS_24const_host_device_scalarIT2_EEPKiS6_PKS3_iiS8_S4_PS3_21rocsparse_index_base_b.kd
    .uniform_work_group_size: 1
    .uses_dynamic_stack: false
    .vgpr_count:     17
    .vgpr_spill_count: 0
    .wavefront_size: 64
  - .args:
      - .offset:         0
        .size:           4
        .value_kind:     by_value
      - .offset:         4
        .size:           4
        .value_kind:     by_value
      - .offset:         8
        .size:           8
        .value_kind:     by_value
      - .actual_access:  read_only
        .address_space:  global
        .offset:         16
        .size:           8
        .value_kind:     global_buffer
      - .actual_access:  read_only
        .address_space:  global
        .offset:         24
        .size:           8
        .value_kind:     global_buffer
      - .actual_access:  read_only
        .address_space:  global
        .offset:         32
        .size:           8
        .value_kind:     global_buffer
      - .offset:         40
        .size:           4
        .value_kind:     by_value
      - .offset:         44
        .size:           4
        .value_kind:     by_value
      - .actual_access:  read_only
        .address_space:  global
        .offset:         48
        .size:           8
        .value_kind:     global_buffer
      - .offset:         56
        .size:           8
        .value_kind:     by_value
      - .address_space:  global
        .offset:         64
        .size:           8
        .value_kind:     global_buffer
      - .offset:         72
        .size:           4
        .value_kind:     by_value
      - .offset:         76
        .size:           1
        .value_kind:     by_value
    .group_segment_fixed_size: 360
    .kernarg_segment_align: 8
    .kernarg_segment_size: 80
    .language:       OpenCL C
    .language_version:
      - 2
      - 0
    .max_flat_workgroup_size: 45
    .name:           _ZN9rocsparseL22gebsrmvn_mxn_16_kernelILj45ELj9ELj5EdEEvi20rocsparse_direction_NS_24const_host_device_scalarIT2_EEPKiS6_PKS3_iiS8_S4_PS3_21rocsparse_index_base_b
    .private_segment_fixed_size: 0
    .sgpr_count:     22
    .sgpr_spill_count: 0
    .symbol:         _ZN9rocsparseL22gebsrmvn_mxn_16_kernelILj45ELj9ELj5EdEEvi20rocsparse_direction_NS_24const_host_device_scalarIT2_EEPKiS6_PKS3_iiS8_S4_PS3_21rocsparse_index_base_b.kd
    .uniform_work_group_size: 1
    .uses_dynamic_stack: false
    .vgpr_count:     18
    .vgpr_spill_count: 0
    .wavefront_size: 64
  - .args:
      - .offset:         0
        .size:           4
        .value_kind:     by_value
      - .offset:         4
        .size:           4
        .value_kind:     by_value
      - .offset:         8
        .size:           8
        .value_kind:     by_value
      - .actual_access:  read_only
        .address_space:  global
        .offset:         16
        .size:           8
        .value_kind:     global_buffer
      - .actual_access:  read_only
        .address_space:  global
        .offset:         24
        .size:           8
        .value_kind:     global_buffer
      - .actual_access:  read_only
        .address_space:  global
        .offset:         32
        .size:           8
        .value_kind:     global_buffer
      - .offset:         40
        .size:           4
        .value_kind:     by_value
      - .offset:         44
        .size:           4
        .value_kind:     by_value
      - .actual_access:  read_only
        .address_space:  global
        .offset:         48
        .size:           8
        .value_kind:     global_buffer
      - .offset:         56
        .size:           8
        .value_kind:     by_value
      - .address_space:  global
        .offset:         64
        .size:           8
        .value_kind:     global_buffer
      - .offset:         72
        .size:           4
        .value_kind:     by_value
      - .offset:         76
        .size:           1
        .value_kind:     by_value
    .group_segment_fixed_size: 432
    .kernarg_segment_align: 8
    .kernarg_segment_size: 80
    .language:       OpenCL C
    .language_version:
      - 2
      - 0
    .max_flat_workgroup_size: 54
    .name:           _ZN9rocsparseL22gebsrmvn_mxn_16_kernelILj54ELj9ELj6EdEEvi20rocsparse_direction_NS_24const_host_device_scalarIT2_EEPKiS6_PKS3_iiS8_S4_PS3_21rocsparse_index_base_b
    .private_segment_fixed_size: 0
    .sgpr_count:     22
    .sgpr_spill_count: 0
    .symbol:         _ZN9rocsparseL22gebsrmvn_mxn_16_kernelILj54ELj9ELj6EdEEvi20rocsparse_direction_NS_24const_host_device_scalarIT2_EEPKiS6_PKS3_iiS8_S4_PS3_21rocsparse_index_base_b.kd
    .uniform_work_group_size: 1
    .uses_dynamic_stack: false
    .vgpr_count:     18
    .vgpr_spill_count: 0
    .wavefront_size: 64
  - .args:
      - .offset:         0
        .size:           4
        .value_kind:     by_value
      - .offset:         4
        .size:           4
        .value_kind:     by_value
      - .offset:         8
        .size:           8
        .value_kind:     by_value
      - .actual_access:  read_only
        .address_space:  global
        .offset:         16
        .size:           8
        .value_kind:     global_buffer
      - .actual_access:  read_only
        .address_space:  global
        .offset:         24
        .size:           8
        .value_kind:     global_buffer
      - .actual_access:  read_only
        .address_space:  global
        .offset:         32
        .size:           8
        .value_kind:     global_buffer
      - .offset:         40
        .size:           4
        .value_kind:     by_value
      - .offset:         44
        .size:           4
        .value_kind:     by_value
      - .actual_access:  read_only
        .address_space:  global
        .offset:         48
        .size:           8
        .value_kind:     global_buffer
      - .offset:         56
        .size:           8
        .value_kind:     by_value
      - .address_space:  global
        .offset:         64
        .size:           8
        .value_kind:     global_buffer
      - .offset:         72
        .size:           4
        .value_kind:     by_value
      - .offset:         76
        .size:           1
        .value_kind:     by_value
    .group_segment_fixed_size: 504
    .kernarg_segment_align: 8
    .kernarg_segment_size: 80
    .language:       OpenCL C
    .language_version:
      - 2
      - 0
    .max_flat_workgroup_size: 63
    .name:           _ZN9rocsparseL22gebsrmvn_mxn_16_kernelILj63ELj9ELj7EdEEvi20rocsparse_direction_NS_24const_host_device_scalarIT2_EEPKiS6_PKS3_iiS8_S4_PS3_21rocsparse_index_base_b
    .private_segment_fixed_size: 0
    .sgpr_count:     22
    .sgpr_spill_count: 0
    .symbol:         _ZN9rocsparseL22gebsrmvn_mxn_16_kernelILj63ELj9ELj7EdEEvi20rocsparse_direction_NS_24const_host_device_scalarIT2_EEPKiS6_PKS3_iiS8_S4_PS3_21rocsparse_index_base_b.kd
    .uniform_work_group_size: 1
    .uses_dynamic_stack: false
    .vgpr_count:     18
    .vgpr_spill_count: 0
    .wavefront_size: 64
  - .args:
      - .offset:         0
        .size:           4
        .value_kind:     by_value
      - .offset:         4
        .size:           4
        .value_kind:     by_value
      - .offset:         8
        .size:           8
        .value_kind:     by_value
      - .actual_access:  read_only
        .address_space:  global
        .offset:         16
        .size:           8
        .value_kind:     global_buffer
      - .actual_access:  read_only
        .address_space:  global
        .offset:         24
        .size:           8
        .value_kind:     global_buffer
      - .actual_access:  read_only
        .address_space:  global
        .offset:         32
        .size:           8
        .value_kind:     global_buffer
      - .offset:         40
        .size:           4
        .value_kind:     by_value
      - .offset:         44
        .size:           4
        .value_kind:     by_value
      - .actual_access:  read_only
        .address_space:  global
        .offset:         48
        .size:           8
        .value_kind:     global_buffer
      - .offset:         56
        .size:           8
        .value_kind:     by_value
      - .address_space:  global
        .offset:         64
        .size:           8
        .value_kind:     global_buffer
      - .offset:         72
        .size:           4
        .value_kind:     by_value
      - .offset:         76
        .size:           1
        .value_kind:     by_value
    .group_segment_fixed_size: 576
    .kernarg_segment_align: 8
    .kernarg_segment_size: 80
    .language:       OpenCL C
    .language_version:
      - 2
      - 0
    .max_flat_workgroup_size: 72
    .name:           _ZN9rocsparseL22gebsrmvn_mxn_16_kernelILj72ELj9ELj8EdEEvi20rocsparse_direction_NS_24const_host_device_scalarIT2_EEPKiS6_PKS3_iiS8_S4_PS3_21rocsparse_index_base_b
    .private_segment_fixed_size: 0
    .sgpr_count:     22
    .sgpr_spill_count: 0
    .symbol:         _ZN9rocsparseL22gebsrmvn_mxn_16_kernelILj72ELj9ELj8EdEEvi20rocsparse_direction_NS_24const_host_device_scalarIT2_EEPKiS6_PKS3_iiS8_S4_PS3_21rocsparse_index_base_b.kd
    .uniform_work_group_size: 1
    .uses_dynamic_stack: false
    .vgpr_count:     17
    .vgpr_spill_count: 0
    .wavefront_size: 64
  - .args:
      - .offset:         0
        .size:           4
        .value_kind:     by_value
      - .offset:         4
        .size:           4
        .value_kind:     by_value
      - .offset:         8
        .size:           8
        .value_kind:     by_value
      - .actual_access:  read_only
        .address_space:  global
        .offset:         16
        .size:           8
        .value_kind:     global_buffer
      - .actual_access:  read_only
        .address_space:  global
        .offset:         24
        .size:           8
        .value_kind:     global_buffer
      - .actual_access:  read_only
        .address_space:  global
        .offset:         32
        .size:           8
        .value_kind:     global_buffer
      - .offset:         40
        .size:           4
        .value_kind:     by_value
      - .offset:         44
        .size:           4
        .value_kind:     by_value
      - .actual_access:  read_only
        .address_space:  global
        .offset:         48
        .size:           8
        .value_kind:     global_buffer
      - .offset:         56
        .size:           8
        .value_kind:     by_value
      - .address_space:  global
        .offset:         64
        .size:           8
        .value_kind:     global_buffer
      - .offset:         72
        .size:           4
        .value_kind:     by_value
      - .offset:         76
        .size:           1
        .value_kind:     by_value
    .group_segment_fixed_size: 0
    .kernarg_segment_align: 8
    .kernarg_segment_size: 80
    .language:       OpenCL C
    .language_version:
      - 2
      - 0
    .max_flat_workgroup_size: 256
    .name:           _ZN9rocsparseL23gebsrmvn_general_kernelILj256ELj16EdEEvi20rocsparse_direction_NS_24const_host_device_scalarIT1_EEPKiS6_PKS3_iiS8_S4_PS3_21rocsparse_index_base_b
    .private_segment_fixed_size: 0
    .sgpr_count:     42
    .sgpr_spill_count: 0
    .symbol:         _ZN9rocsparseL23gebsrmvn_general_kernelILj256ELj16EdEEvi20rocsparse_direction_NS_24const_host_device_scalarIT1_EEPKiS6_PKS3_iiS8_S4_PS3_21rocsparse_index_base_b.kd
    .uniform_work_group_size: 1
    .uses_dynamic_stack: false
    .vgpr_count:     16
    .vgpr_spill_count: 0
    .wavefront_size: 64
  - .args:
      - .offset:         0
        .size:           4
        .value_kind:     by_value
      - .offset:         4
        .size:           4
        .value_kind:     by_value
      - .offset:         8
        .size:           8
        .value_kind:     by_value
      - .actual_access:  read_only
        .address_space:  global
        .offset:         16
        .size:           8
        .value_kind:     global_buffer
      - .actual_access:  read_only
        .address_space:  global
        .offset:         24
        .size:           8
        .value_kind:     global_buffer
      - .actual_access:  read_only
        .address_space:  global
        .offset:         32
        .size:           8
        .value_kind:     global_buffer
      - .offset:         40
        .size:           4
        .value_kind:     by_value
      - .offset:         44
        .size:           4
        .value_kind:     by_value
      - .actual_access:  read_only
        .address_space:  global
        .offset:         48
        .size:           8
        .value_kind:     global_buffer
      - .offset:         56
        .size:           8
        .value_kind:     by_value
      - .address_space:  global
        .offset:         64
        .size:           8
        .value_kind:     global_buffer
      - .offset:         72
        .size:           4
        .value_kind:     by_value
      - .offset:         76
        .size:           1
        .value_kind:     by_value
    .group_segment_fixed_size: 0
    .kernarg_segment_align: 8
    .kernarg_segment_size: 80
    .language:       OpenCL C
    .language_version:
      - 2
      - 0
    .max_flat_workgroup_size: 512
    .name:           _ZN9rocsparseL23gebsrmvn_general_kernelILj512ELj32EdEEvi20rocsparse_direction_NS_24const_host_device_scalarIT1_EEPKiS6_PKS3_iiS8_S4_PS3_21rocsparse_index_base_b
    .private_segment_fixed_size: 0
    .sgpr_count:     42
    .sgpr_spill_count: 0
    .symbol:         _ZN9rocsparseL23gebsrmvn_general_kernelILj512ELj32EdEEvi20rocsparse_direction_NS_24const_host_device_scalarIT1_EEPKiS6_PKS3_iiS8_S4_PS3_21rocsparse_index_base_b.kd
    .uniform_work_group_size: 1
    .uses_dynamic_stack: false
    .vgpr_count:     16
    .vgpr_spill_count: 0
    .wavefront_size: 64
  - .args:
      - .offset:         0
        .size:           4
        .value_kind:     by_value
      - .offset:         4
        .size:           4
        .value_kind:     by_value
      - .offset:         8
        .size:           8
        .value_kind:     by_value
      - .actual_access:  read_only
        .address_space:  global
        .offset:         16
        .size:           8
        .value_kind:     global_buffer
      - .actual_access:  read_only
        .address_space:  global
        .offset:         24
        .size:           8
        .value_kind:     global_buffer
      - .actual_access:  read_only
        .address_space:  global
        .offset:         32
        .size:           8
        .value_kind:     global_buffer
      - .offset:         40
        .size:           4
        .value_kind:     by_value
      - .offset:         44
        .size:           4
        .value_kind:     by_value
      - .actual_access:  read_only
        .address_space:  global
        .offset:         48
        .size:           8
        .value_kind:     global_buffer
      - .offset:         56
        .size:           8
        .value_kind:     by_value
      - .address_space:  global
        .offset:         64
        .size:           8
        .value_kind:     global_buffer
      - .offset:         72
        .size:           4
        .value_kind:     by_value
      - .offset:         76
        .size:           1
        .value_kind:     by_value
    .group_segment_fixed_size: 480
    .kernarg_segment_align: 8
    .kernarg_segment_size: 80
    .language:       OpenCL C
    .language_version:
      - 2
      - 0
    .max_flat_workgroup_size: 60
    .name:           _ZN9rocsparseL22gebsrmvn_mxn_16_kernelILj60ELj10ELj1EdEEvi20rocsparse_direction_NS_24const_host_device_scalarIT2_EEPKiS6_PKS3_iiS8_S4_PS3_21rocsparse_index_base_b
    .private_segment_fixed_size: 0
    .sgpr_count:     20
    .sgpr_spill_count: 0
    .symbol:         _ZN9rocsparseL22gebsrmvn_mxn_16_kernelILj60ELj10ELj1EdEEvi20rocsparse_direction_NS_24const_host_device_scalarIT2_EEPKiS6_PKS3_iiS8_S4_PS3_21rocsparse_index_base_b.kd
    .uniform_work_group_size: 1
    .uses_dynamic_stack: false
    .vgpr_count:     15
    .vgpr_spill_count: 0
    .wavefront_size: 64
  - .args:
      - .offset:         0
        .size:           4
        .value_kind:     by_value
      - .offset:         4
        .size:           4
        .value_kind:     by_value
      - .offset:         8
        .size:           8
        .value_kind:     by_value
      - .actual_access:  read_only
        .address_space:  global
        .offset:         16
        .size:           8
        .value_kind:     global_buffer
      - .actual_access:  read_only
        .address_space:  global
        .offset:         24
        .size:           8
        .value_kind:     global_buffer
      - .actual_access:  read_only
        .address_space:  global
        .offset:         32
        .size:           8
        .value_kind:     global_buffer
      - .offset:         40
        .size:           4
        .value_kind:     by_value
      - .offset:         44
        .size:           4
        .value_kind:     by_value
      - .actual_access:  read_only
        .address_space:  global
        .offset:         48
        .size:           8
        .value_kind:     global_buffer
      - .offset:         56
        .size:           8
        .value_kind:     by_value
      - .address_space:  global
        .offset:         64
        .size:           8
        .value_kind:     global_buffer
      - .offset:         72
        .size:           4
        .value_kind:     by_value
      - .offset:         76
        .size:           1
        .value_kind:     by_value
    .group_segment_fixed_size: 480
    .kernarg_segment_align: 8
    .kernarg_segment_size: 80
    .language:       OpenCL C
    .language_version:
      - 2
      - 0
    .max_flat_workgroup_size: 60
    .name:           _ZN9rocsparseL22gebsrmvn_mxn_16_kernelILj60ELj10ELj2EdEEvi20rocsparse_direction_NS_24const_host_device_scalarIT2_EEPKiS6_PKS3_iiS8_S4_PS3_21rocsparse_index_base_b
    .private_segment_fixed_size: 0
    .sgpr_count:     22
    .sgpr_spill_count: 0
    .symbol:         _ZN9rocsparseL22gebsrmvn_mxn_16_kernelILj60ELj10ELj2EdEEvi20rocsparse_direction_NS_24const_host_device_scalarIT2_EEPKiS6_PKS3_iiS8_S4_PS3_21rocsparse_index_base_b.kd
    .uniform_work_group_size: 1
    .uses_dynamic_stack: false
    .vgpr_count:     17
    .vgpr_spill_count: 0
    .wavefront_size: 64
  - .args:
      - .offset:         0
        .size:           4
        .value_kind:     by_value
      - .offset:         4
        .size:           4
        .value_kind:     by_value
      - .offset:         8
        .size:           8
        .value_kind:     by_value
      - .actual_access:  read_only
        .address_space:  global
        .offset:         16
        .size:           8
        .value_kind:     global_buffer
      - .actual_access:  read_only
        .address_space:  global
        .offset:         24
        .size:           8
        .value_kind:     global_buffer
      - .actual_access:  read_only
        .address_space:  global
        .offset:         32
        .size:           8
        .value_kind:     global_buffer
      - .offset:         40
        .size:           4
        .value_kind:     by_value
      - .offset:         44
        .size:           4
        .value_kind:     by_value
      - .actual_access:  read_only
        .address_space:  global
        .offset:         48
        .size:           8
        .value_kind:     global_buffer
      - .offset:         56
        .size:           8
        .value_kind:     by_value
      - .address_space:  global
        .offset:         64
        .size:           8
        .value_kind:     global_buffer
      - .offset:         72
        .size:           4
        .value_kind:     by_value
      - .offset:         76
        .size:           1
        .value_kind:     by_value
    .group_segment_fixed_size: 480
    .kernarg_segment_align: 8
    .kernarg_segment_size: 80
    .language:       OpenCL C
    .language_version:
      - 2
      - 0
    .max_flat_workgroup_size: 60
    .name:           _ZN9rocsparseL22gebsrmvn_mxn_16_kernelILj60ELj10ELj3EdEEvi20rocsparse_direction_NS_24const_host_device_scalarIT2_EEPKiS6_PKS3_iiS8_S4_PS3_21rocsparse_index_base_b
    .private_segment_fixed_size: 0
    .sgpr_count:     22
    .sgpr_spill_count: 0
    .symbol:         _ZN9rocsparseL22gebsrmvn_mxn_16_kernelILj60ELj10ELj3EdEEvi20rocsparse_direction_NS_24const_host_device_scalarIT2_EEPKiS6_PKS3_iiS8_S4_PS3_21rocsparse_index_base_b.kd
    .uniform_work_group_size: 1
    .uses_dynamic_stack: false
    .vgpr_count:     18
    .vgpr_spill_count: 0
    .wavefront_size: 64
  - .args:
      - .offset:         0
        .size:           4
        .value_kind:     by_value
      - .offset:         4
        .size:           4
        .value_kind:     by_value
      - .offset:         8
        .size:           8
        .value_kind:     by_value
      - .actual_access:  read_only
        .address_space:  global
        .offset:         16
        .size:           8
        .value_kind:     global_buffer
      - .actual_access:  read_only
        .address_space:  global
        .offset:         24
        .size:           8
        .value_kind:     global_buffer
      - .actual_access:  read_only
        .address_space:  global
        .offset:         32
        .size:           8
        .value_kind:     global_buffer
      - .offset:         40
        .size:           4
        .value_kind:     by_value
      - .offset:         44
        .size:           4
        .value_kind:     by_value
      - .actual_access:  read_only
        .address_space:  global
        .offset:         48
        .size:           8
        .value_kind:     global_buffer
      - .offset:         56
        .size:           8
        .value_kind:     by_value
      - .address_space:  global
        .offset:         64
        .size:           8
        .value_kind:     global_buffer
      - .offset:         72
        .size:           4
        .value_kind:     by_value
      - .offset:         76
        .size:           1
        .value_kind:     by_value
    .group_segment_fixed_size: 320
    .kernarg_segment_align: 8
    .kernarg_segment_size: 80
    .language:       OpenCL C
    .language_version:
      - 2
      - 0
    .max_flat_workgroup_size: 40
    .name:           _ZN9rocsparseL22gebsrmvn_mxn_16_kernelILj40ELj10ELj4EdEEvi20rocsparse_direction_NS_24const_host_device_scalarIT2_EEPKiS6_PKS3_iiS8_S4_PS3_21rocsparse_index_base_b
    .private_segment_fixed_size: 0
    .sgpr_count:     22
    .sgpr_spill_count: 0
    .symbol:         _ZN9rocsparseL22gebsrmvn_mxn_16_kernelILj40ELj10ELj4EdEEvi20rocsparse_direction_NS_24const_host_device_scalarIT2_EEPKiS6_PKS3_iiS8_S4_PS3_21rocsparse_index_base_b.kd
    .uniform_work_group_size: 1
    .uses_dynamic_stack: false
    .vgpr_count:     17
    .vgpr_spill_count: 0
    .wavefront_size: 64
  - .args:
      - .offset:         0
        .size:           4
        .value_kind:     by_value
      - .offset:         4
        .size:           4
        .value_kind:     by_value
      - .offset:         8
        .size:           8
        .value_kind:     by_value
      - .actual_access:  read_only
        .address_space:  global
        .offset:         16
        .size:           8
        .value_kind:     global_buffer
      - .actual_access:  read_only
        .address_space:  global
        .offset:         24
        .size:           8
        .value_kind:     global_buffer
      - .actual_access:  read_only
        .address_space:  global
        .offset:         32
        .size:           8
        .value_kind:     global_buffer
      - .offset:         40
        .size:           4
        .value_kind:     by_value
      - .offset:         44
        .size:           4
        .value_kind:     by_value
      - .actual_access:  read_only
        .address_space:  global
        .offset:         48
        .size:           8
        .value_kind:     global_buffer
      - .offset:         56
        .size:           8
        .value_kind:     by_value
      - .address_space:  global
        .offset:         64
        .size:           8
        .value_kind:     global_buffer
      - .offset:         72
        .size:           4
        .value_kind:     by_value
      - .offset:         76
        .size:           1
        .value_kind:     by_value
    .group_segment_fixed_size: 400
    .kernarg_segment_align: 8
    .kernarg_segment_size: 80
    .language:       OpenCL C
    .language_version:
      - 2
      - 0
    .max_flat_workgroup_size: 50
    .name:           _ZN9rocsparseL22gebsrmvn_mxn_16_kernelILj50ELj10ELj5EdEEvi20rocsparse_direction_NS_24const_host_device_scalarIT2_EEPKiS6_PKS3_iiS8_S4_PS3_21rocsparse_index_base_b
    .private_segment_fixed_size: 0
    .sgpr_count:     22
    .sgpr_spill_count: 0
    .symbol:         _ZN9rocsparseL22gebsrmvn_mxn_16_kernelILj50ELj10ELj5EdEEvi20rocsparse_direction_NS_24const_host_device_scalarIT2_EEPKiS6_PKS3_iiS8_S4_PS3_21rocsparse_index_base_b.kd
    .uniform_work_group_size: 1
    .uses_dynamic_stack: false
    .vgpr_count:     18
    .vgpr_spill_count: 0
    .wavefront_size: 64
  - .args:
      - .offset:         0
        .size:           4
        .value_kind:     by_value
      - .offset:         4
        .size:           4
        .value_kind:     by_value
      - .offset:         8
        .size:           8
        .value_kind:     by_value
      - .actual_access:  read_only
        .address_space:  global
        .offset:         16
        .size:           8
        .value_kind:     global_buffer
      - .actual_access:  read_only
        .address_space:  global
        .offset:         24
        .size:           8
        .value_kind:     global_buffer
      - .actual_access:  read_only
        .address_space:  global
        .offset:         32
        .size:           8
        .value_kind:     global_buffer
      - .offset:         40
        .size:           4
        .value_kind:     by_value
      - .offset:         44
        .size:           4
        .value_kind:     by_value
      - .actual_access:  read_only
        .address_space:  global
        .offset:         48
        .size:           8
        .value_kind:     global_buffer
      - .offset:         56
        .size:           8
        .value_kind:     by_value
      - .address_space:  global
        .offset:         64
        .size:           8
        .value_kind:     global_buffer
      - .offset:         72
        .size:           4
        .value_kind:     by_value
      - .offset:         76
        .size:           1
        .value_kind:     by_value
    .group_segment_fixed_size: 480
    .kernarg_segment_align: 8
    .kernarg_segment_size: 80
    .language:       OpenCL C
    .language_version:
      - 2
      - 0
    .max_flat_workgroup_size: 60
    .name:           _ZN9rocsparseL22gebsrmvn_mxn_16_kernelILj60ELj10ELj6EdEEvi20rocsparse_direction_NS_24const_host_device_scalarIT2_EEPKiS6_PKS3_iiS8_S4_PS3_21rocsparse_index_base_b
    .private_segment_fixed_size: 0
    .sgpr_count:     22
    .sgpr_spill_count: 0
    .symbol:         _ZN9rocsparseL22gebsrmvn_mxn_16_kernelILj60ELj10ELj6EdEEvi20rocsparse_direction_NS_24const_host_device_scalarIT2_EEPKiS6_PKS3_iiS8_S4_PS3_21rocsparse_index_base_b.kd
    .uniform_work_group_size: 1
    .uses_dynamic_stack: false
    .vgpr_count:     18
    .vgpr_spill_count: 0
    .wavefront_size: 64
  - .args:
      - .offset:         0
        .size:           4
        .value_kind:     by_value
      - .offset:         4
        .size:           4
        .value_kind:     by_value
      - .offset:         8
        .size:           8
        .value_kind:     by_value
      - .actual_access:  read_only
        .address_space:  global
        .offset:         16
        .size:           8
        .value_kind:     global_buffer
      - .actual_access:  read_only
        .address_space:  global
        .offset:         24
        .size:           8
        .value_kind:     global_buffer
      - .actual_access:  read_only
        .address_space:  global
        .offset:         32
        .size:           8
        .value_kind:     global_buffer
      - .offset:         40
        .size:           4
        .value_kind:     by_value
      - .offset:         44
        .size:           4
        .value_kind:     by_value
      - .actual_access:  read_only
        .address_space:  global
        .offset:         48
        .size:           8
        .value_kind:     global_buffer
      - .offset:         56
        .size:           8
        .value_kind:     by_value
      - .address_space:  global
        .offset:         64
        .size:           8
        .value_kind:     global_buffer
      - .offset:         72
        .size:           4
        .value_kind:     by_value
      - .offset:         76
        .size:           1
        .value_kind:     by_value
    .group_segment_fixed_size: 560
    .kernarg_segment_align: 8
    .kernarg_segment_size: 80
    .language:       OpenCL C
    .language_version:
      - 2
      - 0
    .max_flat_workgroup_size: 70
    .name:           _ZN9rocsparseL22gebsrmvn_mxn_16_kernelILj70ELj10ELj7EdEEvi20rocsparse_direction_NS_24const_host_device_scalarIT2_EEPKiS6_PKS3_iiS8_S4_PS3_21rocsparse_index_base_b
    .private_segment_fixed_size: 0
    .sgpr_count:     22
    .sgpr_spill_count: 0
    .symbol:         _ZN9rocsparseL22gebsrmvn_mxn_16_kernelILj70ELj10ELj7EdEEvi20rocsparse_direction_NS_24const_host_device_scalarIT2_EEPKiS6_PKS3_iiS8_S4_PS3_21rocsparse_index_base_b.kd
    .uniform_work_group_size: 1
    .uses_dynamic_stack: false
    .vgpr_count:     18
    .vgpr_spill_count: 0
    .wavefront_size: 64
  - .args:
      - .offset:         0
        .size:           4
        .value_kind:     by_value
      - .offset:         4
        .size:           4
        .value_kind:     by_value
      - .offset:         8
        .size:           8
        .value_kind:     by_value
      - .actual_access:  read_only
        .address_space:  global
        .offset:         16
        .size:           8
        .value_kind:     global_buffer
      - .actual_access:  read_only
        .address_space:  global
        .offset:         24
        .size:           8
        .value_kind:     global_buffer
      - .actual_access:  read_only
        .address_space:  global
        .offset:         32
        .size:           8
        .value_kind:     global_buffer
      - .offset:         40
        .size:           4
        .value_kind:     by_value
      - .offset:         44
        .size:           4
        .value_kind:     by_value
      - .actual_access:  read_only
        .address_space:  global
        .offset:         48
        .size:           8
        .value_kind:     global_buffer
      - .offset:         56
        .size:           8
        .value_kind:     by_value
      - .address_space:  global
        .offset:         64
        .size:           8
        .value_kind:     global_buffer
      - .offset:         72
        .size:           4
        .value_kind:     by_value
      - .offset:         76
        .size:           1
        .value_kind:     by_value
    .group_segment_fixed_size: 640
    .kernarg_segment_align: 8
    .kernarg_segment_size: 80
    .language:       OpenCL C
    .language_version:
      - 2
      - 0
    .max_flat_workgroup_size: 80
    .name:           _ZN9rocsparseL22gebsrmvn_mxn_16_kernelILj80ELj10ELj8EdEEvi20rocsparse_direction_NS_24const_host_device_scalarIT2_EEPKiS6_PKS3_iiS8_S4_PS3_21rocsparse_index_base_b
    .private_segment_fixed_size: 0
    .sgpr_count:     22
    .sgpr_spill_count: 0
    .symbol:         _ZN9rocsparseL22gebsrmvn_mxn_16_kernelILj80ELj10ELj8EdEEvi20rocsparse_direction_NS_24const_host_device_scalarIT2_EEPKiS6_PKS3_iiS8_S4_PS3_21rocsparse_index_base_b.kd
    .uniform_work_group_size: 1
    .uses_dynamic_stack: false
    .vgpr_count:     17
    .vgpr_spill_count: 0
    .wavefront_size: 64
  - .args:
      - .offset:         0
        .size:           4
        .value_kind:     by_value
      - .offset:         4
        .size:           4
        .value_kind:     by_value
      - .offset:         8
        .size:           8
        .value_kind:     by_value
      - .actual_access:  read_only
        .address_space:  global
        .offset:         16
        .size:           8
        .value_kind:     global_buffer
      - .actual_access:  read_only
        .address_space:  global
        .offset:         24
        .size:           8
        .value_kind:     global_buffer
      - .actual_access:  read_only
        .address_space:  global
        .offset:         32
        .size:           8
        .value_kind:     global_buffer
      - .offset:         40
        .size:           4
        .value_kind:     by_value
      - .offset:         44
        .size:           4
        .value_kind:     by_value
      - .actual_access:  read_only
        .address_space:  global
        .offset:         48
        .size:           8
        .value_kind:     global_buffer
      - .offset:         56
        .size:           8
        .value_kind:     by_value
      - .address_space:  global
        .offset:         64
        .size:           8
        .value_kind:     global_buffer
      - .offset:         72
        .size:           4
        .value_kind:     by_value
      - .offset:         76
        .size:           1
        .value_kind:     by_value
    .group_segment_fixed_size: 440
    .kernarg_segment_align: 8
    .kernarg_segment_size: 80
    .language:       OpenCL C
    .language_version:
      - 2
      - 0
    .max_flat_workgroup_size: 55
    .name:           _ZN9rocsparseL22gebsrmvn_mxn_16_kernelILj55ELj11ELj1EdEEvi20rocsparse_direction_NS_24const_host_device_scalarIT2_EEPKiS6_PKS3_iiS8_S4_PS3_21rocsparse_index_base_b
    .private_segment_fixed_size: 0
    .sgpr_count:     20
    .sgpr_spill_count: 0
    .symbol:         _ZN9rocsparseL22gebsrmvn_mxn_16_kernelILj55ELj11ELj1EdEEvi20rocsparse_direction_NS_24const_host_device_scalarIT2_EEPKiS6_PKS3_iiS8_S4_PS3_21rocsparse_index_base_b.kd
    .uniform_work_group_size: 1
    .uses_dynamic_stack: false
    .vgpr_count:     15
    .vgpr_spill_count: 0
    .wavefront_size: 64
  - .args:
      - .offset:         0
        .size:           4
        .value_kind:     by_value
      - .offset:         4
        .size:           4
        .value_kind:     by_value
      - .offset:         8
        .size:           8
        .value_kind:     by_value
      - .actual_access:  read_only
        .address_space:  global
        .offset:         16
        .size:           8
        .value_kind:     global_buffer
      - .actual_access:  read_only
        .address_space:  global
        .offset:         24
        .size:           8
        .value_kind:     global_buffer
      - .actual_access:  read_only
        .address_space:  global
        .offset:         32
        .size:           8
        .value_kind:     global_buffer
      - .offset:         40
        .size:           4
        .value_kind:     by_value
      - .offset:         44
        .size:           4
        .value_kind:     by_value
      - .actual_access:  read_only
        .address_space:  global
        .offset:         48
        .size:           8
        .value_kind:     global_buffer
      - .offset:         56
        .size:           8
        .value_kind:     by_value
      - .address_space:  global
        .offset:         64
        .size:           8
        .value_kind:     global_buffer
      - .offset:         72
        .size:           4
        .value_kind:     by_value
      - .offset:         76
        .size:           1
        .value_kind:     by_value
    .group_segment_fixed_size: 352
    .kernarg_segment_align: 8
    .kernarg_segment_size: 80
    .language:       OpenCL C
    .language_version:
      - 2
      - 0
    .max_flat_workgroup_size: 44
    .name:           _ZN9rocsparseL22gebsrmvn_mxn_16_kernelILj44ELj11ELj2EdEEvi20rocsparse_direction_NS_24const_host_device_scalarIT2_EEPKiS6_PKS3_iiS8_S4_PS3_21rocsparse_index_base_b
    .private_segment_fixed_size: 0
    .sgpr_count:     22
    .sgpr_spill_count: 0
    .symbol:         _ZN9rocsparseL22gebsrmvn_mxn_16_kernelILj44ELj11ELj2EdEEvi20rocsparse_direction_NS_24const_host_device_scalarIT2_EEPKiS6_PKS3_iiS8_S4_PS3_21rocsparse_index_base_b.kd
    .uniform_work_group_size: 1
    .uses_dynamic_stack: false
    .vgpr_count:     17
    .vgpr_spill_count: 0
    .wavefront_size: 64
  - .args:
      - .offset:         0
        .size:           4
        .value_kind:     by_value
      - .offset:         4
        .size:           4
        .value_kind:     by_value
      - .offset:         8
        .size:           8
        .value_kind:     by_value
      - .actual_access:  read_only
        .address_space:  global
        .offset:         16
        .size:           8
        .value_kind:     global_buffer
      - .actual_access:  read_only
        .address_space:  global
        .offset:         24
        .size:           8
        .value_kind:     global_buffer
      - .actual_access:  read_only
        .address_space:  global
        .offset:         32
        .size:           8
        .value_kind:     global_buffer
      - .offset:         40
        .size:           4
        .value_kind:     by_value
      - .offset:         44
        .size:           4
        .value_kind:     by_value
      - .actual_access:  read_only
        .address_space:  global
        .offset:         48
        .size:           8
        .value_kind:     global_buffer
      - .offset:         56
        .size:           8
        .value_kind:     by_value
      - .address_space:  global
        .offset:         64
        .size:           8
        .value_kind:     global_buffer
      - .offset:         72
        .size:           4
        .value_kind:     by_value
      - .offset:         76
        .size:           1
        .value_kind:     by_value
    .group_segment_fixed_size: 264
    .kernarg_segment_align: 8
    .kernarg_segment_size: 80
    .language:       OpenCL C
    .language_version:
      - 2
      - 0
    .max_flat_workgroup_size: 33
    .name:           _ZN9rocsparseL22gebsrmvn_mxn_16_kernelILj33ELj11ELj3EdEEvi20rocsparse_direction_NS_24const_host_device_scalarIT2_EEPKiS6_PKS3_iiS8_S4_PS3_21rocsparse_index_base_b
    .private_segment_fixed_size: 0
    .sgpr_count:     22
    .sgpr_spill_count: 0
    .symbol:         _ZN9rocsparseL22gebsrmvn_mxn_16_kernelILj33ELj11ELj3EdEEvi20rocsparse_direction_NS_24const_host_device_scalarIT2_EEPKiS6_PKS3_iiS8_S4_PS3_21rocsparse_index_base_b.kd
    .uniform_work_group_size: 1
    .uses_dynamic_stack: false
    .vgpr_count:     18
    .vgpr_spill_count: 0
    .wavefront_size: 64
  - .args:
      - .offset:         0
        .size:           4
        .value_kind:     by_value
      - .offset:         4
        .size:           4
        .value_kind:     by_value
      - .offset:         8
        .size:           8
        .value_kind:     by_value
      - .actual_access:  read_only
        .address_space:  global
        .offset:         16
        .size:           8
        .value_kind:     global_buffer
      - .actual_access:  read_only
        .address_space:  global
        .offset:         24
        .size:           8
        .value_kind:     global_buffer
      - .actual_access:  read_only
        .address_space:  global
        .offset:         32
        .size:           8
        .value_kind:     global_buffer
      - .offset:         40
        .size:           4
        .value_kind:     by_value
      - .offset:         44
        .size:           4
        .value_kind:     by_value
      - .actual_access:  read_only
        .address_space:  global
        .offset:         48
        .size:           8
        .value_kind:     global_buffer
      - .offset:         56
        .size:           8
        .value_kind:     by_value
      - .address_space:  global
        .offset:         64
        .size:           8
        .value_kind:     global_buffer
      - .offset:         72
        .size:           4
        .value_kind:     by_value
      - .offset:         76
        .size:           1
        .value_kind:     by_value
    .group_segment_fixed_size: 352
    .kernarg_segment_align: 8
    .kernarg_segment_size: 80
    .language:       OpenCL C
    .language_version:
      - 2
      - 0
    .max_flat_workgroup_size: 44
    .name:           _ZN9rocsparseL22gebsrmvn_mxn_16_kernelILj44ELj11ELj4EdEEvi20rocsparse_direction_NS_24const_host_device_scalarIT2_EEPKiS6_PKS3_iiS8_S4_PS3_21rocsparse_index_base_b
    .private_segment_fixed_size: 0
    .sgpr_count:     22
    .sgpr_spill_count: 0
    .symbol:         _ZN9rocsparseL22gebsrmvn_mxn_16_kernelILj44ELj11ELj4EdEEvi20rocsparse_direction_NS_24const_host_device_scalarIT2_EEPKiS6_PKS3_iiS8_S4_PS3_21rocsparse_index_base_b.kd
    .uniform_work_group_size: 1
    .uses_dynamic_stack: false
    .vgpr_count:     17
    .vgpr_spill_count: 0
    .wavefront_size: 64
  - .args:
      - .offset:         0
        .size:           4
        .value_kind:     by_value
      - .offset:         4
        .size:           4
        .value_kind:     by_value
      - .offset:         8
        .size:           8
        .value_kind:     by_value
      - .actual_access:  read_only
        .address_space:  global
        .offset:         16
        .size:           8
        .value_kind:     global_buffer
      - .actual_access:  read_only
        .address_space:  global
        .offset:         24
        .size:           8
        .value_kind:     global_buffer
      - .actual_access:  read_only
        .address_space:  global
        .offset:         32
        .size:           8
        .value_kind:     global_buffer
      - .offset:         40
        .size:           4
        .value_kind:     by_value
      - .offset:         44
        .size:           4
        .value_kind:     by_value
      - .actual_access:  read_only
        .address_space:  global
        .offset:         48
        .size:           8
        .value_kind:     global_buffer
      - .offset:         56
        .size:           8
        .value_kind:     by_value
      - .address_space:  global
        .offset:         64
        .size:           8
        .value_kind:     global_buffer
      - .offset:         72
        .size:           4
        .value_kind:     by_value
      - .offset:         76
        .size:           1
        .value_kind:     by_value
    .group_segment_fixed_size: 440
    .kernarg_segment_align: 8
    .kernarg_segment_size: 80
    .language:       OpenCL C
    .language_version:
      - 2
      - 0
    .max_flat_workgroup_size: 55
    .name:           _ZN9rocsparseL22gebsrmvn_mxn_16_kernelILj55ELj11ELj5EdEEvi20rocsparse_direction_NS_24const_host_device_scalarIT2_EEPKiS6_PKS3_iiS8_S4_PS3_21rocsparse_index_base_b
    .private_segment_fixed_size: 0
    .sgpr_count:     22
    .sgpr_spill_count: 0
    .symbol:         _ZN9rocsparseL22gebsrmvn_mxn_16_kernelILj55ELj11ELj5EdEEvi20rocsparse_direction_NS_24const_host_device_scalarIT2_EEPKiS6_PKS3_iiS8_S4_PS3_21rocsparse_index_base_b.kd
    .uniform_work_group_size: 1
    .uses_dynamic_stack: false
    .vgpr_count:     18
    .vgpr_spill_count: 0
    .wavefront_size: 64
  - .args:
      - .offset:         0
        .size:           4
        .value_kind:     by_value
      - .offset:         4
        .size:           4
        .value_kind:     by_value
      - .offset:         8
        .size:           8
        .value_kind:     by_value
      - .actual_access:  read_only
        .address_space:  global
        .offset:         16
        .size:           8
        .value_kind:     global_buffer
      - .actual_access:  read_only
        .address_space:  global
        .offset:         24
        .size:           8
        .value_kind:     global_buffer
      - .actual_access:  read_only
        .address_space:  global
        .offset:         32
        .size:           8
        .value_kind:     global_buffer
      - .offset:         40
        .size:           4
        .value_kind:     by_value
      - .offset:         44
        .size:           4
        .value_kind:     by_value
      - .actual_access:  read_only
        .address_space:  global
        .offset:         48
        .size:           8
        .value_kind:     global_buffer
      - .offset:         56
        .size:           8
        .value_kind:     by_value
      - .address_space:  global
        .offset:         64
        .size:           8
        .value_kind:     global_buffer
      - .offset:         72
        .size:           4
        .value_kind:     by_value
      - .offset:         76
        .size:           1
        .value_kind:     by_value
    .group_segment_fixed_size: 528
    .kernarg_segment_align: 8
    .kernarg_segment_size: 80
    .language:       OpenCL C
    .language_version:
      - 2
      - 0
    .max_flat_workgroup_size: 66
    .name:           _ZN9rocsparseL22gebsrmvn_mxn_16_kernelILj66ELj11ELj6EdEEvi20rocsparse_direction_NS_24const_host_device_scalarIT2_EEPKiS6_PKS3_iiS8_S4_PS3_21rocsparse_index_base_b
    .private_segment_fixed_size: 0
    .sgpr_count:     22
    .sgpr_spill_count: 0
    .symbol:         _ZN9rocsparseL22gebsrmvn_mxn_16_kernelILj66ELj11ELj6EdEEvi20rocsparse_direction_NS_24const_host_device_scalarIT2_EEPKiS6_PKS3_iiS8_S4_PS3_21rocsparse_index_base_b.kd
    .uniform_work_group_size: 1
    .uses_dynamic_stack: false
    .vgpr_count:     18
    .vgpr_spill_count: 0
    .wavefront_size: 64
  - .args:
      - .offset:         0
        .size:           4
        .value_kind:     by_value
      - .offset:         4
        .size:           4
        .value_kind:     by_value
      - .offset:         8
        .size:           8
        .value_kind:     by_value
      - .actual_access:  read_only
        .address_space:  global
        .offset:         16
        .size:           8
        .value_kind:     global_buffer
      - .actual_access:  read_only
        .address_space:  global
        .offset:         24
        .size:           8
        .value_kind:     global_buffer
      - .actual_access:  read_only
        .address_space:  global
        .offset:         32
        .size:           8
        .value_kind:     global_buffer
      - .offset:         40
        .size:           4
        .value_kind:     by_value
      - .offset:         44
        .size:           4
        .value_kind:     by_value
      - .actual_access:  read_only
        .address_space:  global
        .offset:         48
        .size:           8
        .value_kind:     global_buffer
      - .offset:         56
        .size:           8
        .value_kind:     by_value
      - .address_space:  global
        .offset:         64
        .size:           8
        .value_kind:     global_buffer
      - .offset:         72
        .size:           4
        .value_kind:     by_value
      - .offset:         76
        .size:           1
        .value_kind:     by_value
    .group_segment_fixed_size: 616
    .kernarg_segment_align: 8
    .kernarg_segment_size: 80
    .language:       OpenCL C
    .language_version:
      - 2
      - 0
    .max_flat_workgroup_size: 77
    .name:           _ZN9rocsparseL22gebsrmvn_mxn_16_kernelILj77ELj11ELj7EdEEvi20rocsparse_direction_NS_24const_host_device_scalarIT2_EEPKiS6_PKS3_iiS8_S4_PS3_21rocsparse_index_base_b
    .private_segment_fixed_size: 0
    .sgpr_count:     22
    .sgpr_spill_count: 0
    .symbol:         _ZN9rocsparseL22gebsrmvn_mxn_16_kernelILj77ELj11ELj7EdEEvi20rocsparse_direction_NS_24const_host_device_scalarIT2_EEPKiS6_PKS3_iiS8_S4_PS3_21rocsparse_index_base_b.kd
    .uniform_work_group_size: 1
    .uses_dynamic_stack: false
    .vgpr_count:     18
    .vgpr_spill_count: 0
    .wavefront_size: 64
  - .args:
      - .offset:         0
        .size:           4
        .value_kind:     by_value
      - .offset:         4
        .size:           4
        .value_kind:     by_value
      - .offset:         8
        .size:           8
        .value_kind:     by_value
      - .actual_access:  read_only
        .address_space:  global
        .offset:         16
        .size:           8
        .value_kind:     global_buffer
      - .actual_access:  read_only
        .address_space:  global
        .offset:         24
        .size:           8
        .value_kind:     global_buffer
      - .actual_access:  read_only
        .address_space:  global
        .offset:         32
        .size:           8
        .value_kind:     global_buffer
      - .offset:         40
        .size:           4
        .value_kind:     by_value
      - .offset:         44
        .size:           4
        .value_kind:     by_value
      - .actual_access:  read_only
        .address_space:  global
        .offset:         48
        .size:           8
        .value_kind:     global_buffer
      - .offset:         56
        .size:           8
        .value_kind:     by_value
      - .address_space:  global
        .offset:         64
        .size:           8
        .value_kind:     global_buffer
      - .offset:         72
        .size:           4
        .value_kind:     by_value
      - .offset:         76
        .size:           1
        .value_kind:     by_value
    .group_segment_fixed_size: 704
    .kernarg_segment_align: 8
    .kernarg_segment_size: 80
    .language:       OpenCL C
    .language_version:
      - 2
      - 0
    .max_flat_workgroup_size: 88
    .name:           _ZN9rocsparseL22gebsrmvn_mxn_16_kernelILj88ELj11ELj8EdEEvi20rocsparse_direction_NS_24const_host_device_scalarIT2_EEPKiS6_PKS3_iiS8_S4_PS3_21rocsparse_index_base_b
    .private_segment_fixed_size: 0
    .sgpr_count:     22
    .sgpr_spill_count: 0
    .symbol:         _ZN9rocsparseL22gebsrmvn_mxn_16_kernelILj88ELj11ELj8EdEEvi20rocsparse_direction_NS_24const_host_device_scalarIT2_EEPKiS6_PKS3_iiS8_S4_PS3_21rocsparse_index_base_b.kd
    .uniform_work_group_size: 1
    .uses_dynamic_stack: false
    .vgpr_count:     17
    .vgpr_spill_count: 0
    .wavefront_size: 64
  - .args:
      - .offset:         0
        .size:           4
        .value_kind:     by_value
      - .offset:         4
        .size:           4
        .value_kind:     by_value
      - .offset:         8
        .size:           8
        .value_kind:     by_value
      - .actual_access:  read_only
        .address_space:  global
        .offset:         16
        .size:           8
        .value_kind:     global_buffer
      - .actual_access:  read_only
        .address_space:  global
        .offset:         24
        .size:           8
        .value_kind:     global_buffer
      - .actual_access:  read_only
        .address_space:  global
        .offset:         32
        .size:           8
        .value_kind:     global_buffer
      - .offset:         40
        .size:           4
        .value_kind:     by_value
      - .offset:         44
        .size:           4
        .value_kind:     by_value
      - .actual_access:  read_only
        .address_space:  global
        .offset:         48
        .size:           8
        .value_kind:     global_buffer
      - .offset:         56
        .size:           8
        .value_kind:     by_value
      - .address_space:  global
        .offset:         64
        .size:           8
        .value_kind:     global_buffer
      - .offset:         72
        .size:           4
        .value_kind:     by_value
      - .offset:         76
        .size:           1
        .value_kind:     by_value
    .group_segment_fixed_size: 480
    .kernarg_segment_align: 8
    .kernarg_segment_size: 80
    .language:       OpenCL C
    .language_version:
      - 2
      - 0
    .max_flat_workgroup_size: 60
    .name:           _ZN9rocsparseL22gebsrmvn_mxn_16_kernelILj60ELj12ELj1EdEEvi20rocsparse_direction_NS_24const_host_device_scalarIT2_EEPKiS6_PKS3_iiS8_S4_PS3_21rocsparse_index_base_b
    .private_segment_fixed_size: 0
    .sgpr_count:     20
    .sgpr_spill_count: 0
    .symbol:         _ZN9rocsparseL22gebsrmvn_mxn_16_kernelILj60ELj12ELj1EdEEvi20rocsparse_direction_NS_24const_host_device_scalarIT2_EEPKiS6_PKS3_iiS8_S4_PS3_21rocsparse_index_base_b.kd
    .uniform_work_group_size: 1
    .uses_dynamic_stack: false
    .vgpr_count:     15
    .vgpr_spill_count: 0
    .wavefront_size: 64
  - .args:
      - .offset:         0
        .size:           4
        .value_kind:     by_value
      - .offset:         4
        .size:           4
        .value_kind:     by_value
      - .offset:         8
        .size:           8
        .value_kind:     by_value
      - .actual_access:  read_only
        .address_space:  global
        .offset:         16
        .size:           8
        .value_kind:     global_buffer
      - .actual_access:  read_only
        .address_space:  global
        .offset:         24
        .size:           8
        .value_kind:     global_buffer
      - .actual_access:  read_only
        .address_space:  global
        .offset:         32
        .size:           8
        .value_kind:     global_buffer
      - .offset:         40
        .size:           4
        .value_kind:     by_value
      - .offset:         44
        .size:           4
        .value_kind:     by_value
      - .actual_access:  read_only
        .address_space:  global
        .offset:         48
        .size:           8
        .value_kind:     global_buffer
      - .offset:         56
        .size:           8
        .value_kind:     by_value
      - .address_space:  global
        .offset:         64
        .size:           8
        .value_kind:     global_buffer
      - .offset:         72
        .size:           4
        .value_kind:     by_value
      - .offset:         76
        .size:           1
        .value_kind:     by_value
    .group_segment_fixed_size: 384
    .kernarg_segment_align: 8
    .kernarg_segment_size: 80
    .language:       OpenCL C
    .language_version:
      - 2
      - 0
    .max_flat_workgroup_size: 48
    .name:           _ZN9rocsparseL22gebsrmvn_mxn_16_kernelILj48ELj12ELj2EdEEvi20rocsparse_direction_NS_24const_host_device_scalarIT2_EEPKiS6_PKS3_iiS8_S4_PS3_21rocsparse_index_base_b
    .private_segment_fixed_size: 0
    .sgpr_count:     22
    .sgpr_spill_count: 0
    .symbol:         _ZN9rocsparseL22gebsrmvn_mxn_16_kernelILj48ELj12ELj2EdEEvi20rocsparse_direction_NS_24const_host_device_scalarIT2_EEPKiS6_PKS3_iiS8_S4_PS3_21rocsparse_index_base_b.kd
    .uniform_work_group_size: 1
    .uses_dynamic_stack: false
    .vgpr_count:     17
    .vgpr_spill_count: 0
    .wavefront_size: 64
  - .args:
      - .offset:         0
        .size:           4
        .value_kind:     by_value
      - .offset:         4
        .size:           4
        .value_kind:     by_value
      - .offset:         8
        .size:           8
        .value_kind:     by_value
      - .actual_access:  read_only
        .address_space:  global
        .offset:         16
        .size:           8
        .value_kind:     global_buffer
      - .actual_access:  read_only
        .address_space:  global
        .offset:         24
        .size:           8
        .value_kind:     global_buffer
      - .actual_access:  read_only
        .address_space:  global
        .offset:         32
        .size:           8
        .value_kind:     global_buffer
      - .offset:         40
        .size:           4
        .value_kind:     by_value
      - .offset:         44
        .size:           4
        .value_kind:     by_value
      - .actual_access:  read_only
        .address_space:  global
        .offset:         48
        .size:           8
        .value_kind:     global_buffer
      - .offset:         56
        .size:           8
        .value_kind:     by_value
      - .address_space:  global
        .offset:         64
        .size:           8
        .value_kind:     global_buffer
      - .offset:         72
        .size:           4
        .value_kind:     by_value
      - .offset:         76
        .size:           1
        .value_kind:     by_value
    .group_segment_fixed_size: 288
    .kernarg_segment_align: 8
    .kernarg_segment_size: 80
    .language:       OpenCL C
    .language_version:
      - 2
      - 0
    .max_flat_workgroup_size: 48
    .name:           _ZN9rocsparseL22gebsrmvn_mxn_16_kernelILj48ELj12ELj3EdEEvi20rocsparse_direction_NS_24const_host_device_scalarIT2_EEPKiS6_PKS3_iiS8_S4_PS3_21rocsparse_index_base_b
    .private_segment_fixed_size: 0
    .sgpr_count:     22
    .sgpr_spill_count: 0
    .symbol:         _ZN9rocsparseL22gebsrmvn_mxn_16_kernelILj48ELj12ELj3EdEEvi20rocsparse_direction_NS_24const_host_device_scalarIT2_EEPKiS6_PKS3_iiS8_S4_PS3_21rocsparse_index_base_b.kd
    .uniform_work_group_size: 1
    .uses_dynamic_stack: false
    .vgpr_count:     18
    .vgpr_spill_count: 0
    .wavefront_size: 64
  - .args:
      - .offset:         0
        .size:           4
        .value_kind:     by_value
      - .offset:         4
        .size:           4
        .value_kind:     by_value
      - .offset:         8
        .size:           8
        .value_kind:     by_value
      - .actual_access:  read_only
        .address_space:  global
        .offset:         16
        .size:           8
        .value_kind:     global_buffer
      - .actual_access:  read_only
        .address_space:  global
        .offset:         24
        .size:           8
        .value_kind:     global_buffer
      - .actual_access:  read_only
        .address_space:  global
        .offset:         32
        .size:           8
        .value_kind:     global_buffer
      - .offset:         40
        .size:           4
        .value_kind:     by_value
      - .offset:         44
        .size:           4
        .value_kind:     by_value
      - .actual_access:  read_only
        .address_space:  global
        .offset:         48
        .size:           8
        .value_kind:     global_buffer
      - .offset:         56
        .size:           8
        .value_kind:     by_value
      - .address_space:  global
        .offset:         64
        .size:           8
        .value_kind:     global_buffer
      - .offset:         72
        .size:           4
        .value_kind:     by_value
      - .offset:         76
        .size:           1
        .value_kind:     by_value
    .group_segment_fixed_size: 384
    .kernarg_segment_align: 8
    .kernarg_segment_size: 80
    .language:       OpenCL C
    .language_version:
      - 2
      - 0
    .max_flat_workgroup_size: 60
    .name:           _ZN9rocsparseL22gebsrmvn_mxn_16_kernelILj60ELj12ELj4EdEEvi20rocsparse_direction_NS_24const_host_device_scalarIT2_EEPKiS6_PKS3_iiS8_S4_PS3_21rocsparse_index_base_b
    .private_segment_fixed_size: 0
    .sgpr_count:     22
    .sgpr_spill_count: 0
    .symbol:         _ZN9rocsparseL22gebsrmvn_mxn_16_kernelILj60ELj12ELj4EdEEvi20rocsparse_direction_NS_24const_host_device_scalarIT2_EEPKiS6_PKS3_iiS8_S4_PS3_21rocsparse_index_base_b.kd
    .uniform_work_group_size: 1
    .uses_dynamic_stack: false
    .vgpr_count:     17
    .vgpr_spill_count: 0
    .wavefront_size: 64
  - .args:
      - .offset:         0
        .size:           4
        .value_kind:     by_value
      - .offset:         4
        .size:           4
        .value_kind:     by_value
      - .offset:         8
        .size:           8
        .value_kind:     by_value
      - .actual_access:  read_only
        .address_space:  global
        .offset:         16
        .size:           8
        .value_kind:     global_buffer
      - .actual_access:  read_only
        .address_space:  global
        .offset:         24
        .size:           8
        .value_kind:     global_buffer
      - .actual_access:  read_only
        .address_space:  global
        .offset:         32
        .size:           8
        .value_kind:     global_buffer
      - .offset:         40
        .size:           4
        .value_kind:     by_value
      - .offset:         44
        .size:           4
        .value_kind:     by_value
      - .actual_access:  read_only
        .address_space:  global
        .offset:         48
        .size:           8
        .value_kind:     global_buffer
      - .offset:         56
        .size:           8
        .value_kind:     by_value
      - .address_space:  global
        .offset:         64
        .size:           8
        .value_kind:     global_buffer
      - .offset:         72
        .size:           4
        .value_kind:     by_value
      - .offset:         76
        .size:           1
        .value_kind:     by_value
    .group_segment_fixed_size: 480
    .kernarg_segment_align: 8
    .kernarg_segment_size: 80
    .language:       OpenCL C
    .language_version:
      - 2
      - 0
    .max_flat_workgroup_size: 60
    .name:           _ZN9rocsparseL22gebsrmvn_mxn_16_kernelILj60ELj12ELj5EdEEvi20rocsparse_direction_NS_24const_host_device_scalarIT2_EEPKiS6_PKS3_iiS8_S4_PS3_21rocsparse_index_base_b
    .private_segment_fixed_size: 0
    .sgpr_count:     22
    .sgpr_spill_count: 0
    .symbol:         _ZN9rocsparseL22gebsrmvn_mxn_16_kernelILj60ELj12ELj5EdEEvi20rocsparse_direction_NS_24const_host_device_scalarIT2_EEPKiS6_PKS3_iiS8_S4_PS3_21rocsparse_index_base_b.kd
    .uniform_work_group_size: 1
    .uses_dynamic_stack: false
    .vgpr_count:     18
    .vgpr_spill_count: 0
    .wavefront_size: 64
  - .args:
      - .offset:         0
        .size:           4
        .value_kind:     by_value
      - .offset:         4
        .size:           4
        .value_kind:     by_value
      - .offset:         8
        .size:           8
        .value_kind:     by_value
      - .actual_access:  read_only
        .address_space:  global
        .offset:         16
        .size:           8
        .value_kind:     global_buffer
      - .actual_access:  read_only
        .address_space:  global
        .offset:         24
        .size:           8
        .value_kind:     global_buffer
      - .actual_access:  read_only
        .address_space:  global
        .offset:         32
        .size:           8
        .value_kind:     global_buffer
      - .offset:         40
        .size:           4
        .value_kind:     by_value
      - .offset:         44
        .size:           4
        .value_kind:     by_value
      - .actual_access:  read_only
        .address_space:  global
        .offset:         48
        .size:           8
        .value_kind:     global_buffer
      - .offset:         56
        .size:           8
        .value_kind:     by_value
      - .address_space:  global
        .offset:         64
        .size:           8
        .value_kind:     global_buffer
      - .offset:         72
        .size:           4
        .value_kind:     by_value
      - .offset:         76
        .size:           1
        .value_kind:     by_value
    .group_segment_fixed_size: 576
    .kernarg_segment_align: 8
    .kernarg_segment_size: 80
    .language:       OpenCL C
    .language_version:
      - 2
      - 0
    .max_flat_workgroup_size: 72
    .name:           _ZN9rocsparseL22gebsrmvn_mxn_16_kernelILj72ELj12ELj6EdEEvi20rocsparse_direction_NS_24const_host_device_scalarIT2_EEPKiS6_PKS3_iiS8_S4_PS3_21rocsparse_index_base_b
    .private_segment_fixed_size: 0
    .sgpr_count:     22
    .sgpr_spill_count: 0
    .symbol:         _ZN9rocsparseL22gebsrmvn_mxn_16_kernelILj72ELj12ELj6EdEEvi20rocsparse_direction_NS_24const_host_device_scalarIT2_EEPKiS6_PKS3_iiS8_S4_PS3_21rocsparse_index_base_b.kd
    .uniform_work_group_size: 1
    .uses_dynamic_stack: false
    .vgpr_count:     18
    .vgpr_spill_count: 0
    .wavefront_size: 64
  - .args:
      - .offset:         0
        .size:           4
        .value_kind:     by_value
      - .offset:         4
        .size:           4
        .value_kind:     by_value
      - .offset:         8
        .size:           8
        .value_kind:     by_value
      - .actual_access:  read_only
        .address_space:  global
        .offset:         16
        .size:           8
        .value_kind:     global_buffer
      - .actual_access:  read_only
        .address_space:  global
        .offset:         24
        .size:           8
        .value_kind:     global_buffer
      - .actual_access:  read_only
        .address_space:  global
        .offset:         32
        .size:           8
        .value_kind:     global_buffer
      - .offset:         40
        .size:           4
        .value_kind:     by_value
      - .offset:         44
        .size:           4
        .value_kind:     by_value
      - .actual_access:  read_only
        .address_space:  global
        .offset:         48
        .size:           8
        .value_kind:     global_buffer
      - .offset:         56
        .size:           8
        .value_kind:     by_value
      - .address_space:  global
        .offset:         64
        .size:           8
        .value_kind:     global_buffer
      - .offset:         72
        .size:           4
        .value_kind:     by_value
      - .offset:         76
        .size:           1
        .value_kind:     by_value
    .group_segment_fixed_size: 672
    .kernarg_segment_align: 8
    .kernarg_segment_size: 80
    .language:       OpenCL C
    .language_version:
      - 2
      - 0
    .max_flat_workgroup_size: 84
    .name:           _ZN9rocsparseL22gebsrmvn_mxn_16_kernelILj84ELj12ELj7EdEEvi20rocsparse_direction_NS_24const_host_device_scalarIT2_EEPKiS6_PKS3_iiS8_S4_PS3_21rocsparse_index_base_b
    .private_segment_fixed_size: 0
    .sgpr_count:     22
    .sgpr_spill_count: 0
    .symbol:         _ZN9rocsparseL22gebsrmvn_mxn_16_kernelILj84ELj12ELj7EdEEvi20rocsparse_direction_NS_24const_host_device_scalarIT2_EEPKiS6_PKS3_iiS8_S4_PS3_21rocsparse_index_base_b.kd
    .uniform_work_group_size: 1
    .uses_dynamic_stack: false
    .vgpr_count:     18
    .vgpr_spill_count: 0
    .wavefront_size: 64
  - .args:
      - .offset:         0
        .size:           4
        .value_kind:     by_value
      - .offset:         4
        .size:           4
        .value_kind:     by_value
      - .offset:         8
        .size:           8
        .value_kind:     by_value
      - .actual_access:  read_only
        .address_space:  global
        .offset:         16
        .size:           8
        .value_kind:     global_buffer
      - .actual_access:  read_only
        .address_space:  global
        .offset:         24
        .size:           8
        .value_kind:     global_buffer
      - .actual_access:  read_only
        .address_space:  global
        .offset:         32
        .size:           8
        .value_kind:     global_buffer
      - .offset:         40
        .size:           4
        .value_kind:     by_value
      - .offset:         44
        .size:           4
        .value_kind:     by_value
      - .actual_access:  read_only
        .address_space:  global
        .offset:         48
        .size:           8
        .value_kind:     global_buffer
      - .offset:         56
        .size:           8
        .value_kind:     by_value
      - .address_space:  global
        .offset:         64
        .size:           8
        .value_kind:     global_buffer
      - .offset:         72
        .size:           4
        .value_kind:     by_value
      - .offset:         76
        .size:           1
        .value_kind:     by_value
    .group_segment_fixed_size: 768
    .kernarg_segment_align: 8
    .kernarg_segment_size: 80
    .language:       OpenCL C
    .language_version:
      - 2
      - 0
    .max_flat_workgroup_size: 96
    .name:           _ZN9rocsparseL22gebsrmvn_mxn_16_kernelILj96ELj12ELj8EdEEvi20rocsparse_direction_NS_24const_host_device_scalarIT2_EEPKiS6_PKS3_iiS8_S4_PS3_21rocsparse_index_base_b
    .private_segment_fixed_size: 0
    .sgpr_count:     22
    .sgpr_spill_count: 0
    .symbol:         _ZN9rocsparseL22gebsrmvn_mxn_16_kernelILj96ELj12ELj8EdEEvi20rocsparse_direction_NS_24const_host_device_scalarIT2_EEPKiS6_PKS3_iiS8_S4_PS3_21rocsparse_index_base_b.kd
    .uniform_work_group_size: 1
    .uses_dynamic_stack: false
    .vgpr_count:     17
    .vgpr_spill_count: 0
    .wavefront_size: 64
  - .args:
      - .offset:         0
        .size:           4
        .value_kind:     by_value
      - .offset:         4
        .size:           4
        .value_kind:     by_value
      - .offset:         8
        .size:           8
        .value_kind:     by_value
      - .actual_access:  read_only
        .address_space:  global
        .offset:         16
        .size:           8
        .value_kind:     global_buffer
      - .actual_access:  read_only
        .address_space:  global
        .offset:         24
        .size:           8
        .value_kind:     global_buffer
      - .actual_access:  read_only
        .address_space:  global
        .offset:         32
        .size:           8
        .value_kind:     global_buffer
      - .offset:         40
        .size:           4
        .value_kind:     by_value
      - .offset:         44
        .size:           4
        .value_kind:     by_value
      - .actual_access:  read_only
        .address_space:  global
        .offset:         48
        .size:           8
        .value_kind:     global_buffer
      - .offset:         56
        .size:           8
        .value_kind:     by_value
      - .address_space:  global
        .offset:         64
        .size:           8
        .value_kind:     global_buffer
      - .offset:         72
        .size:           4
        .value_kind:     by_value
      - .offset:         76
        .size:           1
        .value_kind:     by_value
    .group_segment_fixed_size: 504
    .kernarg_segment_align: 8
    .kernarg_segment_size: 80
    .language:       OpenCL C
    .language_version:
      - 2
      - 0
    .max_flat_workgroup_size: 63
    .name:           _ZN9rocsparseL22gebsrmvn_mxn_16_kernelILj63ELj9ELj1E21rocsparse_complex_numIfEEEvi20rocsparse_direction_NS_24const_host_device_scalarIT2_EEPKiS8_PKS5_iiSA_S6_PS5_21rocsparse_index_base_b
    .private_segment_fixed_size: 0
    .sgpr_count:     20
    .sgpr_spill_count: 0
    .symbol:         _ZN9rocsparseL22gebsrmvn_mxn_16_kernelILj63ELj9ELj1E21rocsparse_complex_numIfEEEvi20rocsparse_direction_NS_24const_host_device_scalarIT2_EEPKiS8_PKS5_iiSA_S6_PS5_21rocsparse_index_base_b.kd
    .uniform_work_group_size: 1
    .uses_dynamic_stack: false
    .vgpr_count:     15
    .vgpr_spill_count: 0
    .wavefront_size: 64
  - .args:
      - .offset:         0
        .size:           4
        .value_kind:     by_value
      - .offset:         4
        .size:           4
        .value_kind:     by_value
      - .offset:         8
        .size:           8
        .value_kind:     by_value
      - .actual_access:  read_only
        .address_space:  global
        .offset:         16
        .size:           8
        .value_kind:     global_buffer
      - .actual_access:  read_only
        .address_space:  global
        .offset:         24
        .size:           8
        .value_kind:     global_buffer
      - .actual_access:  read_only
        .address_space:  global
        .offset:         32
        .size:           8
        .value_kind:     global_buffer
      - .offset:         40
        .size:           4
        .value_kind:     by_value
      - .offset:         44
        .size:           4
        .value_kind:     by_value
      - .actual_access:  read_only
        .address_space:  global
        .offset:         48
        .size:           8
        .value_kind:     global_buffer
      - .offset:         56
        .size:           8
        .value_kind:     by_value
      - .address_space:  global
        .offset:         64
        .size:           8
        .value_kind:     global_buffer
      - .offset:         72
        .size:           4
        .value_kind:     by_value
      - .offset:         76
        .size:           1
        .value_kind:     by_value
    .group_segment_fixed_size: 432
    .kernarg_segment_align: 8
    .kernarg_segment_size: 80
    .language:       OpenCL C
    .language_version:
      - 2
      - 0
    .max_flat_workgroup_size: 54
    .name:           _ZN9rocsparseL22gebsrmvn_mxn_16_kernelILj54ELj9ELj2E21rocsparse_complex_numIfEEEvi20rocsparse_direction_NS_24const_host_device_scalarIT2_EEPKiS8_PKS5_iiSA_S6_PS5_21rocsparse_index_base_b
    .private_segment_fixed_size: 0
    .sgpr_count:     22
    .sgpr_spill_count: 0
    .symbol:         _ZN9rocsparseL22gebsrmvn_mxn_16_kernelILj54ELj9ELj2E21rocsparse_complex_numIfEEEvi20rocsparse_direction_NS_24const_host_device_scalarIT2_EEPKiS8_PKS5_iiSA_S6_PS5_21rocsparse_index_base_b.kd
    .uniform_work_group_size: 1
    .uses_dynamic_stack: false
    .vgpr_count:     17
    .vgpr_spill_count: 0
    .wavefront_size: 64
  - .args:
      - .offset:         0
        .size:           4
        .value_kind:     by_value
      - .offset:         4
        .size:           4
        .value_kind:     by_value
      - .offset:         8
        .size:           8
        .value_kind:     by_value
      - .actual_access:  read_only
        .address_space:  global
        .offset:         16
        .size:           8
        .value_kind:     global_buffer
      - .actual_access:  read_only
        .address_space:  global
        .offset:         24
        .size:           8
        .value_kind:     global_buffer
      - .actual_access:  read_only
        .address_space:  global
        .offset:         32
        .size:           8
        .value_kind:     global_buffer
      - .offset:         40
        .size:           4
        .value_kind:     by_value
      - .offset:         44
        .size:           4
        .value_kind:     by_value
      - .actual_access:  read_only
        .address_space:  global
        .offset:         48
        .size:           8
        .value_kind:     global_buffer
      - .offset:         56
        .size:           8
        .value_kind:     by_value
      - .address_space:  global
        .offset:         64
        .size:           8
        .value_kind:     global_buffer
      - .offset:         72
        .size:           4
        .value_kind:     by_value
      - .offset:         76
        .size:           1
        .value_kind:     by_value
    .group_segment_fixed_size: 432
    .kernarg_segment_align: 8
    .kernarg_segment_size: 80
    .language:       OpenCL C
    .language_version:
      - 2
      - 0
    .max_flat_workgroup_size: 54
    .name:           _ZN9rocsparseL22gebsrmvn_mxn_16_kernelILj54ELj9ELj3E21rocsparse_complex_numIfEEEvi20rocsparse_direction_NS_24const_host_device_scalarIT2_EEPKiS8_PKS5_iiSA_S6_PS5_21rocsparse_index_base_b
    .private_segment_fixed_size: 0
    .sgpr_count:     22
    .sgpr_spill_count: 0
    .symbol:         _ZN9rocsparseL22gebsrmvn_mxn_16_kernelILj54ELj9ELj3E21rocsparse_complex_numIfEEEvi20rocsparse_direction_NS_24const_host_device_scalarIT2_EEPKiS8_PKS5_iiSA_S6_PS5_21rocsparse_index_base_b.kd
    .uniform_work_group_size: 1
    .uses_dynamic_stack: false
    .vgpr_count:     18
    .vgpr_spill_count: 0
    .wavefront_size: 64
  - .args:
      - .offset:         0
        .size:           4
        .value_kind:     by_value
      - .offset:         4
        .size:           4
        .value_kind:     by_value
      - .offset:         8
        .size:           8
        .value_kind:     by_value
      - .actual_access:  read_only
        .address_space:  global
        .offset:         16
        .size:           8
        .value_kind:     global_buffer
      - .actual_access:  read_only
        .address_space:  global
        .offset:         24
        .size:           8
        .value_kind:     global_buffer
      - .actual_access:  read_only
        .address_space:  global
        .offset:         32
        .size:           8
        .value_kind:     global_buffer
      - .offset:         40
        .size:           4
        .value_kind:     by_value
      - .offset:         44
        .size:           4
        .value_kind:     by_value
      - .actual_access:  read_only
        .address_space:  global
        .offset:         48
        .size:           8
        .value_kind:     global_buffer
      - .offset:         56
        .size:           8
        .value_kind:     by_value
      - .address_space:  global
        .offset:         64
        .size:           8
        .value_kind:     global_buffer
      - .offset:         72
        .size:           4
        .value_kind:     by_value
      - .offset:         76
        .size:           1
        .value_kind:     by_value
    .group_segment_fixed_size: 288
    .kernarg_segment_align: 8
    .kernarg_segment_size: 80
    .language:       OpenCL C
    .language_version:
      - 2
      - 0
    .max_flat_workgroup_size: 36
    .name:           _ZN9rocsparseL22gebsrmvn_mxn_16_kernelILj36ELj9ELj4E21rocsparse_complex_numIfEEEvi20rocsparse_direction_NS_24const_host_device_scalarIT2_EEPKiS8_PKS5_iiSA_S6_PS5_21rocsparse_index_base_b
    .private_segment_fixed_size: 0
    .sgpr_count:     22
    .sgpr_spill_count: 0
    .symbol:         _ZN9rocsparseL22gebsrmvn_mxn_16_kernelILj36ELj9ELj4E21rocsparse_complex_numIfEEEvi20rocsparse_direction_NS_24const_host_device_scalarIT2_EEPKiS8_PKS5_iiSA_S6_PS5_21rocsparse_index_base_b.kd
    .uniform_work_group_size: 1
    .uses_dynamic_stack: false
    .vgpr_count:     17
    .vgpr_spill_count: 0
    .wavefront_size: 64
  - .args:
      - .offset:         0
        .size:           4
        .value_kind:     by_value
      - .offset:         4
        .size:           4
        .value_kind:     by_value
      - .offset:         8
        .size:           8
        .value_kind:     by_value
      - .actual_access:  read_only
        .address_space:  global
        .offset:         16
        .size:           8
        .value_kind:     global_buffer
      - .actual_access:  read_only
        .address_space:  global
        .offset:         24
        .size:           8
        .value_kind:     global_buffer
      - .actual_access:  read_only
        .address_space:  global
        .offset:         32
        .size:           8
        .value_kind:     global_buffer
      - .offset:         40
        .size:           4
        .value_kind:     by_value
      - .offset:         44
        .size:           4
        .value_kind:     by_value
      - .actual_access:  read_only
        .address_space:  global
        .offset:         48
        .size:           8
        .value_kind:     global_buffer
      - .offset:         56
        .size:           8
        .value_kind:     by_value
      - .address_space:  global
        .offset:         64
        .size:           8
        .value_kind:     global_buffer
      - .offset:         72
        .size:           4
        .value_kind:     by_value
      - .offset:         76
        .size:           1
        .value_kind:     by_value
    .group_segment_fixed_size: 360
    .kernarg_segment_align: 8
    .kernarg_segment_size: 80
    .language:       OpenCL C
    .language_version:
      - 2
      - 0
    .max_flat_workgroup_size: 45
    .name:           _ZN9rocsparseL22gebsrmvn_mxn_16_kernelILj45ELj9ELj5E21rocsparse_complex_numIfEEEvi20rocsparse_direction_NS_24const_host_device_scalarIT2_EEPKiS8_PKS5_iiSA_S6_PS5_21rocsparse_index_base_b
    .private_segment_fixed_size: 0
    .sgpr_count:     22
    .sgpr_spill_count: 0
    .symbol:         _ZN9rocsparseL22gebsrmvn_mxn_16_kernelILj45ELj9ELj5E21rocsparse_complex_numIfEEEvi20rocsparse_direction_NS_24const_host_device_scalarIT2_EEPKiS8_PKS5_iiSA_S6_PS5_21rocsparse_index_base_b.kd
    .uniform_work_group_size: 1
    .uses_dynamic_stack: false
    .vgpr_count:     18
    .vgpr_spill_count: 0
    .wavefront_size: 64
  - .args:
      - .offset:         0
        .size:           4
        .value_kind:     by_value
      - .offset:         4
        .size:           4
        .value_kind:     by_value
      - .offset:         8
        .size:           8
        .value_kind:     by_value
      - .actual_access:  read_only
        .address_space:  global
        .offset:         16
        .size:           8
        .value_kind:     global_buffer
      - .actual_access:  read_only
        .address_space:  global
        .offset:         24
        .size:           8
        .value_kind:     global_buffer
      - .actual_access:  read_only
        .address_space:  global
        .offset:         32
        .size:           8
        .value_kind:     global_buffer
      - .offset:         40
        .size:           4
        .value_kind:     by_value
      - .offset:         44
        .size:           4
        .value_kind:     by_value
      - .actual_access:  read_only
        .address_space:  global
        .offset:         48
        .size:           8
        .value_kind:     global_buffer
      - .offset:         56
        .size:           8
        .value_kind:     by_value
      - .address_space:  global
        .offset:         64
        .size:           8
        .value_kind:     global_buffer
      - .offset:         72
        .size:           4
        .value_kind:     by_value
      - .offset:         76
        .size:           1
        .value_kind:     by_value
    .group_segment_fixed_size: 432
    .kernarg_segment_align: 8
    .kernarg_segment_size: 80
    .language:       OpenCL C
    .language_version:
      - 2
      - 0
    .max_flat_workgroup_size: 54
    .name:           _ZN9rocsparseL22gebsrmvn_mxn_16_kernelILj54ELj9ELj6E21rocsparse_complex_numIfEEEvi20rocsparse_direction_NS_24const_host_device_scalarIT2_EEPKiS8_PKS5_iiSA_S6_PS5_21rocsparse_index_base_b
    .private_segment_fixed_size: 0
    .sgpr_count:     22
    .sgpr_spill_count: 0
    .symbol:         _ZN9rocsparseL22gebsrmvn_mxn_16_kernelILj54ELj9ELj6E21rocsparse_complex_numIfEEEvi20rocsparse_direction_NS_24const_host_device_scalarIT2_EEPKiS8_PKS5_iiSA_S6_PS5_21rocsparse_index_base_b.kd
    .uniform_work_group_size: 1
    .uses_dynamic_stack: false
    .vgpr_count:     18
    .vgpr_spill_count: 0
    .wavefront_size: 64
  - .args:
      - .offset:         0
        .size:           4
        .value_kind:     by_value
      - .offset:         4
        .size:           4
        .value_kind:     by_value
      - .offset:         8
        .size:           8
        .value_kind:     by_value
      - .actual_access:  read_only
        .address_space:  global
        .offset:         16
        .size:           8
        .value_kind:     global_buffer
      - .actual_access:  read_only
        .address_space:  global
        .offset:         24
        .size:           8
        .value_kind:     global_buffer
      - .actual_access:  read_only
        .address_space:  global
        .offset:         32
        .size:           8
        .value_kind:     global_buffer
      - .offset:         40
        .size:           4
        .value_kind:     by_value
      - .offset:         44
        .size:           4
        .value_kind:     by_value
      - .actual_access:  read_only
        .address_space:  global
        .offset:         48
        .size:           8
        .value_kind:     global_buffer
      - .offset:         56
        .size:           8
        .value_kind:     by_value
      - .address_space:  global
        .offset:         64
        .size:           8
        .value_kind:     global_buffer
      - .offset:         72
        .size:           4
        .value_kind:     by_value
      - .offset:         76
        .size:           1
        .value_kind:     by_value
    .group_segment_fixed_size: 504
    .kernarg_segment_align: 8
    .kernarg_segment_size: 80
    .language:       OpenCL C
    .language_version:
      - 2
      - 0
    .max_flat_workgroup_size: 63
    .name:           _ZN9rocsparseL22gebsrmvn_mxn_16_kernelILj63ELj9ELj7E21rocsparse_complex_numIfEEEvi20rocsparse_direction_NS_24const_host_device_scalarIT2_EEPKiS8_PKS5_iiSA_S6_PS5_21rocsparse_index_base_b
    .private_segment_fixed_size: 0
    .sgpr_count:     22
    .sgpr_spill_count: 0
    .symbol:         _ZN9rocsparseL22gebsrmvn_mxn_16_kernelILj63ELj9ELj7E21rocsparse_complex_numIfEEEvi20rocsparse_direction_NS_24const_host_device_scalarIT2_EEPKiS8_PKS5_iiSA_S6_PS5_21rocsparse_index_base_b.kd
    .uniform_work_group_size: 1
    .uses_dynamic_stack: false
    .vgpr_count:     18
    .vgpr_spill_count: 0
    .wavefront_size: 64
  - .args:
      - .offset:         0
        .size:           4
        .value_kind:     by_value
      - .offset:         4
        .size:           4
        .value_kind:     by_value
      - .offset:         8
        .size:           8
        .value_kind:     by_value
      - .actual_access:  read_only
        .address_space:  global
        .offset:         16
        .size:           8
        .value_kind:     global_buffer
      - .actual_access:  read_only
        .address_space:  global
        .offset:         24
        .size:           8
        .value_kind:     global_buffer
      - .actual_access:  read_only
        .address_space:  global
        .offset:         32
        .size:           8
        .value_kind:     global_buffer
      - .offset:         40
        .size:           4
        .value_kind:     by_value
      - .offset:         44
        .size:           4
        .value_kind:     by_value
      - .actual_access:  read_only
        .address_space:  global
        .offset:         48
        .size:           8
        .value_kind:     global_buffer
      - .offset:         56
        .size:           8
        .value_kind:     by_value
      - .address_space:  global
        .offset:         64
        .size:           8
        .value_kind:     global_buffer
      - .offset:         72
        .size:           4
        .value_kind:     by_value
      - .offset:         76
        .size:           1
        .value_kind:     by_value
    .group_segment_fixed_size: 576
    .kernarg_segment_align: 8
    .kernarg_segment_size: 80
    .language:       OpenCL C
    .language_version:
      - 2
      - 0
    .max_flat_workgroup_size: 72
    .name:           _ZN9rocsparseL22gebsrmvn_mxn_16_kernelILj72ELj9ELj8E21rocsparse_complex_numIfEEEvi20rocsparse_direction_NS_24const_host_device_scalarIT2_EEPKiS8_PKS5_iiSA_S6_PS5_21rocsparse_index_base_b
    .private_segment_fixed_size: 0
    .sgpr_count:     22
    .sgpr_spill_count: 0
    .symbol:         _ZN9rocsparseL22gebsrmvn_mxn_16_kernelILj72ELj9ELj8E21rocsparse_complex_numIfEEEvi20rocsparse_direction_NS_24const_host_device_scalarIT2_EEPKiS8_PKS5_iiSA_S6_PS5_21rocsparse_index_base_b.kd
    .uniform_work_group_size: 1
    .uses_dynamic_stack: false
    .vgpr_count:     17
    .vgpr_spill_count: 0
    .wavefront_size: 64
  - .args:
      - .offset:         0
        .size:           4
        .value_kind:     by_value
      - .offset:         4
        .size:           4
        .value_kind:     by_value
      - .offset:         8
        .size:           8
        .value_kind:     by_value
      - .actual_access:  read_only
        .address_space:  global
        .offset:         16
        .size:           8
        .value_kind:     global_buffer
      - .actual_access:  read_only
        .address_space:  global
        .offset:         24
        .size:           8
        .value_kind:     global_buffer
      - .actual_access:  read_only
        .address_space:  global
        .offset:         32
        .size:           8
        .value_kind:     global_buffer
      - .offset:         40
        .size:           4
        .value_kind:     by_value
      - .offset:         44
        .size:           4
        .value_kind:     by_value
      - .actual_access:  read_only
        .address_space:  global
        .offset:         48
        .size:           8
        .value_kind:     global_buffer
      - .offset:         56
        .size:           8
        .value_kind:     by_value
      - .address_space:  global
        .offset:         64
        .size:           8
        .value_kind:     global_buffer
      - .offset:         72
        .size:           4
        .value_kind:     by_value
      - .offset:         76
        .size:           1
        .value_kind:     by_value
    .group_segment_fixed_size: 0
    .kernarg_segment_align: 8
    .kernarg_segment_size: 80
    .language:       OpenCL C
    .language_version:
      - 2
      - 0
    .max_flat_workgroup_size: 256
    .name:           _ZN9rocsparseL23gebsrmvn_general_kernelILj256ELj16E21rocsparse_complex_numIfEEEvi20rocsparse_direction_NS_24const_host_device_scalarIT1_EEPKiS8_PKS5_iiSA_S6_PS5_21rocsparse_index_base_b
    .private_segment_fixed_size: 0
    .sgpr_count:     42
    .sgpr_spill_count: 0
    .symbol:         _ZN9rocsparseL23gebsrmvn_general_kernelILj256ELj16E21rocsparse_complex_numIfEEEvi20rocsparse_direction_NS_24const_host_device_scalarIT1_EEPKiS8_PKS5_iiSA_S6_PS5_21rocsparse_index_base_b.kd
    .uniform_work_group_size: 1
    .uses_dynamic_stack: false
    .vgpr_count:     16
    .vgpr_spill_count: 0
    .wavefront_size: 64
  - .args:
      - .offset:         0
        .size:           4
        .value_kind:     by_value
      - .offset:         4
        .size:           4
        .value_kind:     by_value
      - .offset:         8
        .size:           8
        .value_kind:     by_value
      - .actual_access:  read_only
        .address_space:  global
        .offset:         16
        .size:           8
        .value_kind:     global_buffer
      - .actual_access:  read_only
        .address_space:  global
        .offset:         24
        .size:           8
        .value_kind:     global_buffer
      - .actual_access:  read_only
        .address_space:  global
        .offset:         32
        .size:           8
        .value_kind:     global_buffer
      - .offset:         40
        .size:           4
        .value_kind:     by_value
      - .offset:         44
        .size:           4
        .value_kind:     by_value
      - .actual_access:  read_only
        .address_space:  global
        .offset:         48
        .size:           8
        .value_kind:     global_buffer
      - .offset:         56
        .size:           8
        .value_kind:     by_value
      - .address_space:  global
        .offset:         64
        .size:           8
        .value_kind:     global_buffer
      - .offset:         72
        .size:           4
        .value_kind:     by_value
      - .offset:         76
        .size:           1
        .value_kind:     by_value
    .group_segment_fixed_size: 0
    .kernarg_segment_align: 8
    .kernarg_segment_size: 80
    .language:       OpenCL C
    .language_version:
      - 2
      - 0
    .max_flat_workgroup_size: 512
    .name:           _ZN9rocsparseL23gebsrmvn_general_kernelILj512ELj32E21rocsparse_complex_numIfEEEvi20rocsparse_direction_NS_24const_host_device_scalarIT1_EEPKiS8_PKS5_iiSA_S6_PS5_21rocsparse_index_base_b
    .private_segment_fixed_size: 0
    .sgpr_count:     42
    .sgpr_spill_count: 0
    .symbol:         _ZN9rocsparseL23gebsrmvn_general_kernelILj512ELj32E21rocsparse_complex_numIfEEEvi20rocsparse_direction_NS_24const_host_device_scalarIT1_EEPKiS8_PKS5_iiSA_S6_PS5_21rocsparse_index_base_b.kd
    .uniform_work_group_size: 1
    .uses_dynamic_stack: false
    .vgpr_count:     16
    .vgpr_spill_count: 0
    .wavefront_size: 64
  - .args:
      - .offset:         0
        .size:           4
        .value_kind:     by_value
      - .offset:         4
        .size:           4
        .value_kind:     by_value
      - .offset:         8
        .size:           8
        .value_kind:     by_value
      - .actual_access:  read_only
        .address_space:  global
        .offset:         16
        .size:           8
        .value_kind:     global_buffer
      - .actual_access:  read_only
        .address_space:  global
        .offset:         24
        .size:           8
        .value_kind:     global_buffer
      - .actual_access:  read_only
        .address_space:  global
        .offset:         32
        .size:           8
        .value_kind:     global_buffer
      - .offset:         40
        .size:           4
        .value_kind:     by_value
      - .offset:         44
        .size:           4
        .value_kind:     by_value
      - .actual_access:  read_only
        .address_space:  global
        .offset:         48
        .size:           8
        .value_kind:     global_buffer
      - .offset:         56
        .size:           8
        .value_kind:     by_value
      - .address_space:  global
        .offset:         64
        .size:           8
        .value_kind:     global_buffer
      - .offset:         72
        .size:           4
        .value_kind:     by_value
      - .offset:         76
        .size:           1
        .value_kind:     by_value
    .group_segment_fixed_size: 480
    .kernarg_segment_align: 8
    .kernarg_segment_size: 80
    .language:       OpenCL C
    .language_version:
      - 2
      - 0
    .max_flat_workgroup_size: 60
    .name:           _ZN9rocsparseL22gebsrmvn_mxn_16_kernelILj60ELj10ELj1E21rocsparse_complex_numIfEEEvi20rocsparse_direction_NS_24const_host_device_scalarIT2_EEPKiS8_PKS5_iiSA_S6_PS5_21rocsparse_index_base_b
    .private_segment_fixed_size: 0
    .sgpr_count:     20
    .sgpr_spill_count: 0
    .symbol:         _ZN9rocsparseL22gebsrmvn_mxn_16_kernelILj60ELj10ELj1E21rocsparse_complex_numIfEEEvi20rocsparse_direction_NS_24const_host_device_scalarIT2_EEPKiS8_PKS5_iiSA_S6_PS5_21rocsparse_index_base_b.kd
    .uniform_work_group_size: 1
    .uses_dynamic_stack: false
    .vgpr_count:     15
    .vgpr_spill_count: 0
    .wavefront_size: 64
  - .args:
      - .offset:         0
        .size:           4
        .value_kind:     by_value
      - .offset:         4
        .size:           4
        .value_kind:     by_value
      - .offset:         8
        .size:           8
        .value_kind:     by_value
      - .actual_access:  read_only
        .address_space:  global
        .offset:         16
        .size:           8
        .value_kind:     global_buffer
      - .actual_access:  read_only
        .address_space:  global
        .offset:         24
        .size:           8
        .value_kind:     global_buffer
      - .actual_access:  read_only
        .address_space:  global
        .offset:         32
        .size:           8
        .value_kind:     global_buffer
      - .offset:         40
        .size:           4
        .value_kind:     by_value
      - .offset:         44
        .size:           4
        .value_kind:     by_value
      - .actual_access:  read_only
        .address_space:  global
        .offset:         48
        .size:           8
        .value_kind:     global_buffer
      - .offset:         56
        .size:           8
        .value_kind:     by_value
      - .address_space:  global
        .offset:         64
        .size:           8
        .value_kind:     global_buffer
      - .offset:         72
        .size:           4
        .value_kind:     by_value
      - .offset:         76
        .size:           1
        .value_kind:     by_value
    .group_segment_fixed_size: 480
    .kernarg_segment_align: 8
    .kernarg_segment_size: 80
    .language:       OpenCL C
    .language_version:
      - 2
      - 0
    .max_flat_workgroup_size: 60
    .name:           _ZN9rocsparseL22gebsrmvn_mxn_16_kernelILj60ELj10ELj2E21rocsparse_complex_numIfEEEvi20rocsparse_direction_NS_24const_host_device_scalarIT2_EEPKiS8_PKS5_iiSA_S6_PS5_21rocsparse_index_base_b
    .private_segment_fixed_size: 0
    .sgpr_count:     22
    .sgpr_spill_count: 0
    .symbol:         _ZN9rocsparseL22gebsrmvn_mxn_16_kernelILj60ELj10ELj2E21rocsparse_complex_numIfEEEvi20rocsparse_direction_NS_24const_host_device_scalarIT2_EEPKiS8_PKS5_iiSA_S6_PS5_21rocsparse_index_base_b.kd
    .uniform_work_group_size: 1
    .uses_dynamic_stack: false
    .vgpr_count:     17
    .vgpr_spill_count: 0
    .wavefront_size: 64
  - .args:
      - .offset:         0
        .size:           4
        .value_kind:     by_value
      - .offset:         4
        .size:           4
        .value_kind:     by_value
      - .offset:         8
        .size:           8
        .value_kind:     by_value
      - .actual_access:  read_only
        .address_space:  global
        .offset:         16
        .size:           8
        .value_kind:     global_buffer
      - .actual_access:  read_only
        .address_space:  global
        .offset:         24
        .size:           8
        .value_kind:     global_buffer
      - .actual_access:  read_only
        .address_space:  global
        .offset:         32
        .size:           8
        .value_kind:     global_buffer
      - .offset:         40
        .size:           4
        .value_kind:     by_value
      - .offset:         44
        .size:           4
        .value_kind:     by_value
      - .actual_access:  read_only
        .address_space:  global
        .offset:         48
        .size:           8
        .value_kind:     global_buffer
      - .offset:         56
        .size:           8
        .value_kind:     by_value
      - .address_space:  global
        .offset:         64
        .size:           8
        .value_kind:     global_buffer
      - .offset:         72
        .size:           4
        .value_kind:     by_value
      - .offset:         76
        .size:           1
        .value_kind:     by_value
    .group_segment_fixed_size: 480
    .kernarg_segment_align: 8
    .kernarg_segment_size: 80
    .language:       OpenCL C
    .language_version:
      - 2
      - 0
    .max_flat_workgroup_size: 60
    .name:           _ZN9rocsparseL22gebsrmvn_mxn_16_kernelILj60ELj10ELj3E21rocsparse_complex_numIfEEEvi20rocsparse_direction_NS_24const_host_device_scalarIT2_EEPKiS8_PKS5_iiSA_S6_PS5_21rocsparse_index_base_b
    .private_segment_fixed_size: 0
    .sgpr_count:     22
    .sgpr_spill_count: 0
    .symbol:         _ZN9rocsparseL22gebsrmvn_mxn_16_kernelILj60ELj10ELj3E21rocsparse_complex_numIfEEEvi20rocsparse_direction_NS_24const_host_device_scalarIT2_EEPKiS8_PKS5_iiSA_S6_PS5_21rocsparse_index_base_b.kd
    .uniform_work_group_size: 1
    .uses_dynamic_stack: false
    .vgpr_count:     18
    .vgpr_spill_count: 0
    .wavefront_size: 64
  - .args:
      - .offset:         0
        .size:           4
        .value_kind:     by_value
      - .offset:         4
        .size:           4
        .value_kind:     by_value
      - .offset:         8
        .size:           8
        .value_kind:     by_value
      - .actual_access:  read_only
        .address_space:  global
        .offset:         16
        .size:           8
        .value_kind:     global_buffer
      - .actual_access:  read_only
        .address_space:  global
        .offset:         24
        .size:           8
        .value_kind:     global_buffer
      - .actual_access:  read_only
        .address_space:  global
        .offset:         32
        .size:           8
        .value_kind:     global_buffer
      - .offset:         40
        .size:           4
        .value_kind:     by_value
      - .offset:         44
        .size:           4
        .value_kind:     by_value
      - .actual_access:  read_only
        .address_space:  global
        .offset:         48
        .size:           8
        .value_kind:     global_buffer
      - .offset:         56
        .size:           8
        .value_kind:     by_value
      - .address_space:  global
        .offset:         64
        .size:           8
        .value_kind:     global_buffer
      - .offset:         72
        .size:           4
        .value_kind:     by_value
      - .offset:         76
        .size:           1
        .value_kind:     by_value
    .group_segment_fixed_size: 320
    .kernarg_segment_align: 8
    .kernarg_segment_size: 80
    .language:       OpenCL C
    .language_version:
      - 2
      - 0
    .max_flat_workgroup_size: 40
    .name:           _ZN9rocsparseL22gebsrmvn_mxn_16_kernelILj40ELj10ELj4E21rocsparse_complex_numIfEEEvi20rocsparse_direction_NS_24const_host_device_scalarIT2_EEPKiS8_PKS5_iiSA_S6_PS5_21rocsparse_index_base_b
    .private_segment_fixed_size: 0
    .sgpr_count:     22
    .sgpr_spill_count: 0
    .symbol:         _ZN9rocsparseL22gebsrmvn_mxn_16_kernelILj40ELj10ELj4E21rocsparse_complex_numIfEEEvi20rocsparse_direction_NS_24const_host_device_scalarIT2_EEPKiS8_PKS5_iiSA_S6_PS5_21rocsparse_index_base_b.kd
    .uniform_work_group_size: 1
    .uses_dynamic_stack: false
    .vgpr_count:     17
    .vgpr_spill_count: 0
    .wavefront_size: 64
  - .args:
      - .offset:         0
        .size:           4
        .value_kind:     by_value
      - .offset:         4
        .size:           4
        .value_kind:     by_value
      - .offset:         8
        .size:           8
        .value_kind:     by_value
      - .actual_access:  read_only
        .address_space:  global
        .offset:         16
        .size:           8
        .value_kind:     global_buffer
      - .actual_access:  read_only
        .address_space:  global
        .offset:         24
        .size:           8
        .value_kind:     global_buffer
      - .actual_access:  read_only
        .address_space:  global
        .offset:         32
        .size:           8
        .value_kind:     global_buffer
      - .offset:         40
        .size:           4
        .value_kind:     by_value
      - .offset:         44
        .size:           4
        .value_kind:     by_value
      - .actual_access:  read_only
        .address_space:  global
        .offset:         48
        .size:           8
        .value_kind:     global_buffer
      - .offset:         56
        .size:           8
        .value_kind:     by_value
      - .address_space:  global
        .offset:         64
        .size:           8
        .value_kind:     global_buffer
      - .offset:         72
        .size:           4
        .value_kind:     by_value
      - .offset:         76
        .size:           1
        .value_kind:     by_value
    .group_segment_fixed_size: 400
    .kernarg_segment_align: 8
    .kernarg_segment_size: 80
    .language:       OpenCL C
    .language_version:
      - 2
      - 0
    .max_flat_workgroup_size: 50
    .name:           _ZN9rocsparseL22gebsrmvn_mxn_16_kernelILj50ELj10ELj5E21rocsparse_complex_numIfEEEvi20rocsparse_direction_NS_24const_host_device_scalarIT2_EEPKiS8_PKS5_iiSA_S6_PS5_21rocsparse_index_base_b
    .private_segment_fixed_size: 0
    .sgpr_count:     22
    .sgpr_spill_count: 0
    .symbol:         _ZN9rocsparseL22gebsrmvn_mxn_16_kernelILj50ELj10ELj5E21rocsparse_complex_numIfEEEvi20rocsparse_direction_NS_24const_host_device_scalarIT2_EEPKiS8_PKS5_iiSA_S6_PS5_21rocsparse_index_base_b.kd
    .uniform_work_group_size: 1
    .uses_dynamic_stack: false
    .vgpr_count:     18
    .vgpr_spill_count: 0
    .wavefront_size: 64
  - .args:
      - .offset:         0
        .size:           4
        .value_kind:     by_value
      - .offset:         4
        .size:           4
        .value_kind:     by_value
      - .offset:         8
        .size:           8
        .value_kind:     by_value
      - .actual_access:  read_only
        .address_space:  global
        .offset:         16
        .size:           8
        .value_kind:     global_buffer
      - .actual_access:  read_only
        .address_space:  global
        .offset:         24
        .size:           8
        .value_kind:     global_buffer
      - .actual_access:  read_only
        .address_space:  global
        .offset:         32
        .size:           8
        .value_kind:     global_buffer
      - .offset:         40
        .size:           4
        .value_kind:     by_value
      - .offset:         44
        .size:           4
        .value_kind:     by_value
      - .actual_access:  read_only
        .address_space:  global
        .offset:         48
        .size:           8
        .value_kind:     global_buffer
      - .offset:         56
        .size:           8
        .value_kind:     by_value
      - .address_space:  global
        .offset:         64
        .size:           8
        .value_kind:     global_buffer
      - .offset:         72
        .size:           4
        .value_kind:     by_value
      - .offset:         76
        .size:           1
        .value_kind:     by_value
    .group_segment_fixed_size: 480
    .kernarg_segment_align: 8
    .kernarg_segment_size: 80
    .language:       OpenCL C
    .language_version:
      - 2
      - 0
    .max_flat_workgroup_size: 60
    .name:           _ZN9rocsparseL22gebsrmvn_mxn_16_kernelILj60ELj10ELj6E21rocsparse_complex_numIfEEEvi20rocsparse_direction_NS_24const_host_device_scalarIT2_EEPKiS8_PKS5_iiSA_S6_PS5_21rocsparse_index_base_b
    .private_segment_fixed_size: 0
    .sgpr_count:     22
    .sgpr_spill_count: 0
    .symbol:         _ZN9rocsparseL22gebsrmvn_mxn_16_kernelILj60ELj10ELj6E21rocsparse_complex_numIfEEEvi20rocsparse_direction_NS_24const_host_device_scalarIT2_EEPKiS8_PKS5_iiSA_S6_PS5_21rocsparse_index_base_b.kd
    .uniform_work_group_size: 1
    .uses_dynamic_stack: false
    .vgpr_count:     18
    .vgpr_spill_count: 0
    .wavefront_size: 64
  - .args:
      - .offset:         0
        .size:           4
        .value_kind:     by_value
      - .offset:         4
        .size:           4
        .value_kind:     by_value
      - .offset:         8
        .size:           8
        .value_kind:     by_value
      - .actual_access:  read_only
        .address_space:  global
        .offset:         16
        .size:           8
        .value_kind:     global_buffer
      - .actual_access:  read_only
        .address_space:  global
        .offset:         24
        .size:           8
        .value_kind:     global_buffer
      - .actual_access:  read_only
        .address_space:  global
        .offset:         32
        .size:           8
        .value_kind:     global_buffer
      - .offset:         40
        .size:           4
        .value_kind:     by_value
      - .offset:         44
        .size:           4
        .value_kind:     by_value
      - .actual_access:  read_only
        .address_space:  global
        .offset:         48
        .size:           8
        .value_kind:     global_buffer
      - .offset:         56
        .size:           8
        .value_kind:     by_value
      - .address_space:  global
        .offset:         64
        .size:           8
        .value_kind:     global_buffer
      - .offset:         72
        .size:           4
        .value_kind:     by_value
      - .offset:         76
        .size:           1
        .value_kind:     by_value
    .group_segment_fixed_size: 560
    .kernarg_segment_align: 8
    .kernarg_segment_size: 80
    .language:       OpenCL C
    .language_version:
      - 2
      - 0
    .max_flat_workgroup_size: 70
    .name:           _ZN9rocsparseL22gebsrmvn_mxn_16_kernelILj70ELj10ELj7E21rocsparse_complex_numIfEEEvi20rocsparse_direction_NS_24const_host_device_scalarIT2_EEPKiS8_PKS5_iiSA_S6_PS5_21rocsparse_index_base_b
    .private_segment_fixed_size: 0
    .sgpr_count:     22
    .sgpr_spill_count: 0
    .symbol:         _ZN9rocsparseL22gebsrmvn_mxn_16_kernelILj70ELj10ELj7E21rocsparse_complex_numIfEEEvi20rocsparse_direction_NS_24const_host_device_scalarIT2_EEPKiS8_PKS5_iiSA_S6_PS5_21rocsparse_index_base_b.kd
    .uniform_work_group_size: 1
    .uses_dynamic_stack: false
    .vgpr_count:     18
    .vgpr_spill_count: 0
    .wavefront_size: 64
  - .args:
      - .offset:         0
        .size:           4
        .value_kind:     by_value
      - .offset:         4
        .size:           4
        .value_kind:     by_value
      - .offset:         8
        .size:           8
        .value_kind:     by_value
      - .actual_access:  read_only
        .address_space:  global
        .offset:         16
        .size:           8
        .value_kind:     global_buffer
      - .actual_access:  read_only
        .address_space:  global
        .offset:         24
        .size:           8
        .value_kind:     global_buffer
      - .actual_access:  read_only
        .address_space:  global
        .offset:         32
        .size:           8
        .value_kind:     global_buffer
      - .offset:         40
        .size:           4
        .value_kind:     by_value
      - .offset:         44
        .size:           4
        .value_kind:     by_value
      - .actual_access:  read_only
        .address_space:  global
        .offset:         48
        .size:           8
        .value_kind:     global_buffer
      - .offset:         56
        .size:           8
        .value_kind:     by_value
      - .address_space:  global
        .offset:         64
        .size:           8
        .value_kind:     global_buffer
      - .offset:         72
        .size:           4
        .value_kind:     by_value
      - .offset:         76
        .size:           1
        .value_kind:     by_value
    .group_segment_fixed_size: 640
    .kernarg_segment_align: 8
    .kernarg_segment_size: 80
    .language:       OpenCL C
    .language_version:
      - 2
      - 0
    .max_flat_workgroup_size: 80
    .name:           _ZN9rocsparseL22gebsrmvn_mxn_16_kernelILj80ELj10ELj8E21rocsparse_complex_numIfEEEvi20rocsparse_direction_NS_24const_host_device_scalarIT2_EEPKiS8_PKS5_iiSA_S6_PS5_21rocsparse_index_base_b
    .private_segment_fixed_size: 0
    .sgpr_count:     22
    .sgpr_spill_count: 0
    .symbol:         _ZN9rocsparseL22gebsrmvn_mxn_16_kernelILj80ELj10ELj8E21rocsparse_complex_numIfEEEvi20rocsparse_direction_NS_24const_host_device_scalarIT2_EEPKiS8_PKS5_iiSA_S6_PS5_21rocsparse_index_base_b.kd
    .uniform_work_group_size: 1
    .uses_dynamic_stack: false
    .vgpr_count:     17
    .vgpr_spill_count: 0
    .wavefront_size: 64
  - .args:
      - .offset:         0
        .size:           4
        .value_kind:     by_value
      - .offset:         4
        .size:           4
        .value_kind:     by_value
      - .offset:         8
        .size:           8
        .value_kind:     by_value
      - .actual_access:  read_only
        .address_space:  global
        .offset:         16
        .size:           8
        .value_kind:     global_buffer
      - .actual_access:  read_only
        .address_space:  global
        .offset:         24
        .size:           8
        .value_kind:     global_buffer
      - .actual_access:  read_only
        .address_space:  global
        .offset:         32
        .size:           8
        .value_kind:     global_buffer
      - .offset:         40
        .size:           4
        .value_kind:     by_value
      - .offset:         44
        .size:           4
        .value_kind:     by_value
      - .actual_access:  read_only
        .address_space:  global
        .offset:         48
        .size:           8
        .value_kind:     global_buffer
      - .offset:         56
        .size:           8
        .value_kind:     by_value
      - .address_space:  global
        .offset:         64
        .size:           8
        .value_kind:     global_buffer
      - .offset:         72
        .size:           4
        .value_kind:     by_value
      - .offset:         76
        .size:           1
        .value_kind:     by_value
    .group_segment_fixed_size: 440
    .kernarg_segment_align: 8
    .kernarg_segment_size: 80
    .language:       OpenCL C
    .language_version:
      - 2
      - 0
    .max_flat_workgroup_size: 55
    .name:           _ZN9rocsparseL22gebsrmvn_mxn_16_kernelILj55ELj11ELj1E21rocsparse_complex_numIfEEEvi20rocsparse_direction_NS_24const_host_device_scalarIT2_EEPKiS8_PKS5_iiSA_S6_PS5_21rocsparse_index_base_b
    .private_segment_fixed_size: 0
    .sgpr_count:     20
    .sgpr_spill_count: 0
    .symbol:         _ZN9rocsparseL22gebsrmvn_mxn_16_kernelILj55ELj11ELj1E21rocsparse_complex_numIfEEEvi20rocsparse_direction_NS_24const_host_device_scalarIT2_EEPKiS8_PKS5_iiSA_S6_PS5_21rocsparse_index_base_b.kd
    .uniform_work_group_size: 1
    .uses_dynamic_stack: false
    .vgpr_count:     15
    .vgpr_spill_count: 0
    .wavefront_size: 64
  - .args:
      - .offset:         0
        .size:           4
        .value_kind:     by_value
      - .offset:         4
        .size:           4
        .value_kind:     by_value
      - .offset:         8
        .size:           8
        .value_kind:     by_value
      - .actual_access:  read_only
        .address_space:  global
        .offset:         16
        .size:           8
        .value_kind:     global_buffer
      - .actual_access:  read_only
        .address_space:  global
        .offset:         24
        .size:           8
        .value_kind:     global_buffer
      - .actual_access:  read_only
        .address_space:  global
        .offset:         32
        .size:           8
        .value_kind:     global_buffer
      - .offset:         40
        .size:           4
        .value_kind:     by_value
      - .offset:         44
        .size:           4
        .value_kind:     by_value
      - .actual_access:  read_only
        .address_space:  global
        .offset:         48
        .size:           8
        .value_kind:     global_buffer
      - .offset:         56
        .size:           8
        .value_kind:     by_value
      - .address_space:  global
        .offset:         64
        .size:           8
        .value_kind:     global_buffer
      - .offset:         72
        .size:           4
        .value_kind:     by_value
      - .offset:         76
        .size:           1
        .value_kind:     by_value
    .group_segment_fixed_size: 352
    .kernarg_segment_align: 8
    .kernarg_segment_size: 80
    .language:       OpenCL C
    .language_version:
      - 2
      - 0
    .max_flat_workgroup_size: 44
    .name:           _ZN9rocsparseL22gebsrmvn_mxn_16_kernelILj44ELj11ELj2E21rocsparse_complex_numIfEEEvi20rocsparse_direction_NS_24const_host_device_scalarIT2_EEPKiS8_PKS5_iiSA_S6_PS5_21rocsparse_index_base_b
    .private_segment_fixed_size: 0
    .sgpr_count:     22
    .sgpr_spill_count: 0
    .symbol:         _ZN9rocsparseL22gebsrmvn_mxn_16_kernelILj44ELj11ELj2E21rocsparse_complex_numIfEEEvi20rocsparse_direction_NS_24const_host_device_scalarIT2_EEPKiS8_PKS5_iiSA_S6_PS5_21rocsparse_index_base_b.kd
    .uniform_work_group_size: 1
    .uses_dynamic_stack: false
    .vgpr_count:     17
    .vgpr_spill_count: 0
    .wavefront_size: 64
  - .args:
      - .offset:         0
        .size:           4
        .value_kind:     by_value
      - .offset:         4
        .size:           4
        .value_kind:     by_value
      - .offset:         8
        .size:           8
        .value_kind:     by_value
      - .actual_access:  read_only
        .address_space:  global
        .offset:         16
        .size:           8
        .value_kind:     global_buffer
      - .actual_access:  read_only
        .address_space:  global
        .offset:         24
        .size:           8
        .value_kind:     global_buffer
      - .actual_access:  read_only
        .address_space:  global
        .offset:         32
        .size:           8
        .value_kind:     global_buffer
      - .offset:         40
        .size:           4
        .value_kind:     by_value
      - .offset:         44
        .size:           4
        .value_kind:     by_value
      - .actual_access:  read_only
        .address_space:  global
        .offset:         48
        .size:           8
        .value_kind:     global_buffer
      - .offset:         56
        .size:           8
        .value_kind:     by_value
      - .address_space:  global
        .offset:         64
        .size:           8
        .value_kind:     global_buffer
      - .offset:         72
        .size:           4
        .value_kind:     by_value
      - .offset:         76
        .size:           1
        .value_kind:     by_value
    .group_segment_fixed_size: 264
    .kernarg_segment_align: 8
    .kernarg_segment_size: 80
    .language:       OpenCL C
    .language_version:
      - 2
      - 0
    .max_flat_workgroup_size: 33
    .name:           _ZN9rocsparseL22gebsrmvn_mxn_16_kernelILj33ELj11ELj3E21rocsparse_complex_numIfEEEvi20rocsparse_direction_NS_24const_host_device_scalarIT2_EEPKiS8_PKS5_iiSA_S6_PS5_21rocsparse_index_base_b
    .private_segment_fixed_size: 0
    .sgpr_count:     22
    .sgpr_spill_count: 0
    .symbol:         _ZN9rocsparseL22gebsrmvn_mxn_16_kernelILj33ELj11ELj3E21rocsparse_complex_numIfEEEvi20rocsparse_direction_NS_24const_host_device_scalarIT2_EEPKiS8_PKS5_iiSA_S6_PS5_21rocsparse_index_base_b.kd
    .uniform_work_group_size: 1
    .uses_dynamic_stack: false
    .vgpr_count:     18
    .vgpr_spill_count: 0
    .wavefront_size: 64
  - .args:
      - .offset:         0
        .size:           4
        .value_kind:     by_value
      - .offset:         4
        .size:           4
        .value_kind:     by_value
      - .offset:         8
        .size:           8
        .value_kind:     by_value
      - .actual_access:  read_only
        .address_space:  global
        .offset:         16
        .size:           8
        .value_kind:     global_buffer
      - .actual_access:  read_only
        .address_space:  global
        .offset:         24
        .size:           8
        .value_kind:     global_buffer
      - .actual_access:  read_only
        .address_space:  global
        .offset:         32
        .size:           8
        .value_kind:     global_buffer
      - .offset:         40
        .size:           4
        .value_kind:     by_value
      - .offset:         44
        .size:           4
        .value_kind:     by_value
      - .actual_access:  read_only
        .address_space:  global
        .offset:         48
        .size:           8
        .value_kind:     global_buffer
      - .offset:         56
        .size:           8
        .value_kind:     by_value
      - .address_space:  global
        .offset:         64
        .size:           8
        .value_kind:     global_buffer
      - .offset:         72
        .size:           4
        .value_kind:     by_value
      - .offset:         76
        .size:           1
        .value_kind:     by_value
    .group_segment_fixed_size: 352
    .kernarg_segment_align: 8
    .kernarg_segment_size: 80
    .language:       OpenCL C
    .language_version:
      - 2
      - 0
    .max_flat_workgroup_size: 44
    .name:           _ZN9rocsparseL22gebsrmvn_mxn_16_kernelILj44ELj11ELj4E21rocsparse_complex_numIfEEEvi20rocsparse_direction_NS_24const_host_device_scalarIT2_EEPKiS8_PKS5_iiSA_S6_PS5_21rocsparse_index_base_b
    .private_segment_fixed_size: 0
    .sgpr_count:     22
    .sgpr_spill_count: 0
    .symbol:         _ZN9rocsparseL22gebsrmvn_mxn_16_kernelILj44ELj11ELj4E21rocsparse_complex_numIfEEEvi20rocsparse_direction_NS_24const_host_device_scalarIT2_EEPKiS8_PKS5_iiSA_S6_PS5_21rocsparse_index_base_b.kd
    .uniform_work_group_size: 1
    .uses_dynamic_stack: false
    .vgpr_count:     17
    .vgpr_spill_count: 0
    .wavefront_size: 64
  - .args:
      - .offset:         0
        .size:           4
        .value_kind:     by_value
      - .offset:         4
        .size:           4
        .value_kind:     by_value
      - .offset:         8
        .size:           8
        .value_kind:     by_value
      - .actual_access:  read_only
        .address_space:  global
        .offset:         16
        .size:           8
        .value_kind:     global_buffer
      - .actual_access:  read_only
        .address_space:  global
        .offset:         24
        .size:           8
        .value_kind:     global_buffer
      - .actual_access:  read_only
        .address_space:  global
        .offset:         32
        .size:           8
        .value_kind:     global_buffer
      - .offset:         40
        .size:           4
        .value_kind:     by_value
      - .offset:         44
        .size:           4
        .value_kind:     by_value
      - .actual_access:  read_only
        .address_space:  global
        .offset:         48
        .size:           8
        .value_kind:     global_buffer
      - .offset:         56
        .size:           8
        .value_kind:     by_value
      - .address_space:  global
        .offset:         64
        .size:           8
        .value_kind:     global_buffer
      - .offset:         72
        .size:           4
        .value_kind:     by_value
      - .offset:         76
        .size:           1
        .value_kind:     by_value
    .group_segment_fixed_size: 440
    .kernarg_segment_align: 8
    .kernarg_segment_size: 80
    .language:       OpenCL C
    .language_version:
      - 2
      - 0
    .max_flat_workgroup_size: 55
    .name:           _ZN9rocsparseL22gebsrmvn_mxn_16_kernelILj55ELj11ELj5E21rocsparse_complex_numIfEEEvi20rocsparse_direction_NS_24const_host_device_scalarIT2_EEPKiS8_PKS5_iiSA_S6_PS5_21rocsparse_index_base_b
    .private_segment_fixed_size: 0
    .sgpr_count:     22
    .sgpr_spill_count: 0
    .symbol:         _ZN9rocsparseL22gebsrmvn_mxn_16_kernelILj55ELj11ELj5E21rocsparse_complex_numIfEEEvi20rocsparse_direction_NS_24const_host_device_scalarIT2_EEPKiS8_PKS5_iiSA_S6_PS5_21rocsparse_index_base_b.kd
    .uniform_work_group_size: 1
    .uses_dynamic_stack: false
    .vgpr_count:     18
    .vgpr_spill_count: 0
    .wavefront_size: 64
  - .args:
      - .offset:         0
        .size:           4
        .value_kind:     by_value
      - .offset:         4
        .size:           4
        .value_kind:     by_value
      - .offset:         8
        .size:           8
        .value_kind:     by_value
      - .actual_access:  read_only
        .address_space:  global
        .offset:         16
        .size:           8
        .value_kind:     global_buffer
      - .actual_access:  read_only
        .address_space:  global
        .offset:         24
        .size:           8
        .value_kind:     global_buffer
      - .actual_access:  read_only
        .address_space:  global
        .offset:         32
        .size:           8
        .value_kind:     global_buffer
      - .offset:         40
        .size:           4
        .value_kind:     by_value
      - .offset:         44
        .size:           4
        .value_kind:     by_value
      - .actual_access:  read_only
        .address_space:  global
        .offset:         48
        .size:           8
        .value_kind:     global_buffer
      - .offset:         56
        .size:           8
        .value_kind:     by_value
      - .address_space:  global
        .offset:         64
        .size:           8
        .value_kind:     global_buffer
      - .offset:         72
        .size:           4
        .value_kind:     by_value
      - .offset:         76
        .size:           1
        .value_kind:     by_value
    .group_segment_fixed_size: 528
    .kernarg_segment_align: 8
    .kernarg_segment_size: 80
    .language:       OpenCL C
    .language_version:
      - 2
      - 0
    .max_flat_workgroup_size: 66
    .name:           _ZN9rocsparseL22gebsrmvn_mxn_16_kernelILj66ELj11ELj6E21rocsparse_complex_numIfEEEvi20rocsparse_direction_NS_24const_host_device_scalarIT2_EEPKiS8_PKS5_iiSA_S6_PS5_21rocsparse_index_base_b
    .private_segment_fixed_size: 0
    .sgpr_count:     22
    .sgpr_spill_count: 0
    .symbol:         _ZN9rocsparseL22gebsrmvn_mxn_16_kernelILj66ELj11ELj6E21rocsparse_complex_numIfEEEvi20rocsparse_direction_NS_24const_host_device_scalarIT2_EEPKiS8_PKS5_iiSA_S6_PS5_21rocsparse_index_base_b.kd
    .uniform_work_group_size: 1
    .uses_dynamic_stack: false
    .vgpr_count:     18
    .vgpr_spill_count: 0
    .wavefront_size: 64
  - .args:
      - .offset:         0
        .size:           4
        .value_kind:     by_value
      - .offset:         4
        .size:           4
        .value_kind:     by_value
      - .offset:         8
        .size:           8
        .value_kind:     by_value
      - .actual_access:  read_only
        .address_space:  global
        .offset:         16
        .size:           8
        .value_kind:     global_buffer
      - .actual_access:  read_only
        .address_space:  global
        .offset:         24
        .size:           8
        .value_kind:     global_buffer
      - .actual_access:  read_only
        .address_space:  global
        .offset:         32
        .size:           8
        .value_kind:     global_buffer
      - .offset:         40
        .size:           4
        .value_kind:     by_value
      - .offset:         44
        .size:           4
        .value_kind:     by_value
      - .actual_access:  read_only
        .address_space:  global
        .offset:         48
        .size:           8
        .value_kind:     global_buffer
      - .offset:         56
        .size:           8
        .value_kind:     by_value
      - .address_space:  global
        .offset:         64
        .size:           8
        .value_kind:     global_buffer
      - .offset:         72
        .size:           4
        .value_kind:     by_value
      - .offset:         76
        .size:           1
        .value_kind:     by_value
    .group_segment_fixed_size: 616
    .kernarg_segment_align: 8
    .kernarg_segment_size: 80
    .language:       OpenCL C
    .language_version:
      - 2
      - 0
    .max_flat_workgroup_size: 77
    .name:           _ZN9rocsparseL22gebsrmvn_mxn_16_kernelILj77ELj11ELj7E21rocsparse_complex_numIfEEEvi20rocsparse_direction_NS_24const_host_device_scalarIT2_EEPKiS8_PKS5_iiSA_S6_PS5_21rocsparse_index_base_b
    .private_segment_fixed_size: 0
    .sgpr_count:     22
    .sgpr_spill_count: 0
    .symbol:         _ZN9rocsparseL22gebsrmvn_mxn_16_kernelILj77ELj11ELj7E21rocsparse_complex_numIfEEEvi20rocsparse_direction_NS_24const_host_device_scalarIT2_EEPKiS8_PKS5_iiSA_S6_PS5_21rocsparse_index_base_b.kd
    .uniform_work_group_size: 1
    .uses_dynamic_stack: false
    .vgpr_count:     18
    .vgpr_spill_count: 0
    .wavefront_size: 64
  - .args:
      - .offset:         0
        .size:           4
        .value_kind:     by_value
      - .offset:         4
        .size:           4
        .value_kind:     by_value
      - .offset:         8
        .size:           8
        .value_kind:     by_value
      - .actual_access:  read_only
        .address_space:  global
        .offset:         16
        .size:           8
        .value_kind:     global_buffer
      - .actual_access:  read_only
        .address_space:  global
        .offset:         24
        .size:           8
        .value_kind:     global_buffer
      - .actual_access:  read_only
        .address_space:  global
        .offset:         32
        .size:           8
        .value_kind:     global_buffer
      - .offset:         40
        .size:           4
        .value_kind:     by_value
      - .offset:         44
        .size:           4
        .value_kind:     by_value
      - .actual_access:  read_only
        .address_space:  global
        .offset:         48
        .size:           8
        .value_kind:     global_buffer
      - .offset:         56
        .size:           8
        .value_kind:     by_value
      - .address_space:  global
        .offset:         64
        .size:           8
        .value_kind:     global_buffer
      - .offset:         72
        .size:           4
        .value_kind:     by_value
      - .offset:         76
        .size:           1
        .value_kind:     by_value
    .group_segment_fixed_size: 704
    .kernarg_segment_align: 8
    .kernarg_segment_size: 80
    .language:       OpenCL C
    .language_version:
      - 2
      - 0
    .max_flat_workgroup_size: 88
    .name:           _ZN9rocsparseL22gebsrmvn_mxn_16_kernelILj88ELj11ELj8E21rocsparse_complex_numIfEEEvi20rocsparse_direction_NS_24const_host_device_scalarIT2_EEPKiS8_PKS5_iiSA_S6_PS5_21rocsparse_index_base_b
    .private_segment_fixed_size: 0
    .sgpr_count:     22
    .sgpr_spill_count: 0
    .symbol:         _ZN9rocsparseL22gebsrmvn_mxn_16_kernelILj88ELj11ELj8E21rocsparse_complex_numIfEEEvi20rocsparse_direction_NS_24const_host_device_scalarIT2_EEPKiS8_PKS5_iiSA_S6_PS5_21rocsparse_index_base_b.kd
    .uniform_work_group_size: 1
    .uses_dynamic_stack: false
    .vgpr_count:     17
    .vgpr_spill_count: 0
    .wavefront_size: 64
  - .args:
      - .offset:         0
        .size:           4
        .value_kind:     by_value
      - .offset:         4
        .size:           4
        .value_kind:     by_value
      - .offset:         8
        .size:           8
        .value_kind:     by_value
      - .actual_access:  read_only
        .address_space:  global
        .offset:         16
        .size:           8
        .value_kind:     global_buffer
      - .actual_access:  read_only
        .address_space:  global
        .offset:         24
        .size:           8
        .value_kind:     global_buffer
      - .actual_access:  read_only
        .address_space:  global
        .offset:         32
        .size:           8
        .value_kind:     global_buffer
      - .offset:         40
        .size:           4
        .value_kind:     by_value
      - .offset:         44
        .size:           4
        .value_kind:     by_value
      - .actual_access:  read_only
        .address_space:  global
        .offset:         48
        .size:           8
        .value_kind:     global_buffer
      - .offset:         56
        .size:           8
        .value_kind:     by_value
      - .address_space:  global
        .offset:         64
        .size:           8
        .value_kind:     global_buffer
      - .offset:         72
        .size:           4
        .value_kind:     by_value
      - .offset:         76
        .size:           1
        .value_kind:     by_value
    .group_segment_fixed_size: 480
    .kernarg_segment_align: 8
    .kernarg_segment_size: 80
    .language:       OpenCL C
    .language_version:
      - 2
      - 0
    .max_flat_workgroup_size: 60
    .name:           _ZN9rocsparseL22gebsrmvn_mxn_16_kernelILj60ELj12ELj1E21rocsparse_complex_numIfEEEvi20rocsparse_direction_NS_24const_host_device_scalarIT2_EEPKiS8_PKS5_iiSA_S6_PS5_21rocsparse_index_base_b
    .private_segment_fixed_size: 0
    .sgpr_count:     20
    .sgpr_spill_count: 0
    .symbol:         _ZN9rocsparseL22gebsrmvn_mxn_16_kernelILj60ELj12ELj1E21rocsparse_complex_numIfEEEvi20rocsparse_direction_NS_24const_host_device_scalarIT2_EEPKiS8_PKS5_iiSA_S6_PS5_21rocsparse_index_base_b.kd
    .uniform_work_group_size: 1
    .uses_dynamic_stack: false
    .vgpr_count:     15
    .vgpr_spill_count: 0
    .wavefront_size: 64
  - .args:
      - .offset:         0
        .size:           4
        .value_kind:     by_value
      - .offset:         4
        .size:           4
        .value_kind:     by_value
      - .offset:         8
        .size:           8
        .value_kind:     by_value
      - .actual_access:  read_only
        .address_space:  global
        .offset:         16
        .size:           8
        .value_kind:     global_buffer
      - .actual_access:  read_only
        .address_space:  global
        .offset:         24
        .size:           8
        .value_kind:     global_buffer
      - .actual_access:  read_only
        .address_space:  global
        .offset:         32
        .size:           8
        .value_kind:     global_buffer
      - .offset:         40
        .size:           4
        .value_kind:     by_value
      - .offset:         44
        .size:           4
        .value_kind:     by_value
      - .actual_access:  read_only
        .address_space:  global
        .offset:         48
        .size:           8
        .value_kind:     global_buffer
      - .offset:         56
        .size:           8
        .value_kind:     by_value
      - .address_space:  global
        .offset:         64
        .size:           8
        .value_kind:     global_buffer
      - .offset:         72
        .size:           4
        .value_kind:     by_value
      - .offset:         76
        .size:           1
        .value_kind:     by_value
    .group_segment_fixed_size: 384
    .kernarg_segment_align: 8
    .kernarg_segment_size: 80
    .language:       OpenCL C
    .language_version:
      - 2
      - 0
    .max_flat_workgroup_size: 48
    .name:           _ZN9rocsparseL22gebsrmvn_mxn_16_kernelILj48ELj12ELj2E21rocsparse_complex_numIfEEEvi20rocsparse_direction_NS_24const_host_device_scalarIT2_EEPKiS8_PKS5_iiSA_S6_PS5_21rocsparse_index_base_b
    .private_segment_fixed_size: 0
    .sgpr_count:     22
    .sgpr_spill_count: 0
    .symbol:         _ZN9rocsparseL22gebsrmvn_mxn_16_kernelILj48ELj12ELj2E21rocsparse_complex_numIfEEEvi20rocsparse_direction_NS_24const_host_device_scalarIT2_EEPKiS8_PKS5_iiSA_S6_PS5_21rocsparse_index_base_b.kd
    .uniform_work_group_size: 1
    .uses_dynamic_stack: false
    .vgpr_count:     17
    .vgpr_spill_count: 0
    .wavefront_size: 64
  - .args:
      - .offset:         0
        .size:           4
        .value_kind:     by_value
      - .offset:         4
        .size:           4
        .value_kind:     by_value
      - .offset:         8
        .size:           8
        .value_kind:     by_value
      - .actual_access:  read_only
        .address_space:  global
        .offset:         16
        .size:           8
        .value_kind:     global_buffer
      - .actual_access:  read_only
        .address_space:  global
        .offset:         24
        .size:           8
        .value_kind:     global_buffer
      - .actual_access:  read_only
        .address_space:  global
        .offset:         32
        .size:           8
        .value_kind:     global_buffer
      - .offset:         40
        .size:           4
        .value_kind:     by_value
      - .offset:         44
        .size:           4
        .value_kind:     by_value
      - .actual_access:  read_only
        .address_space:  global
        .offset:         48
        .size:           8
        .value_kind:     global_buffer
      - .offset:         56
        .size:           8
        .value_kind:     by_value
      - .address_space:  global
        .offset:         64
        .size:           8
        .value_kind:     global_buffer
      - .offset:         72
        .size:           4
        .value_kind:     by_value
      - .offset:         76
        .size:           1
        .value_kind:     by_value
    .group_segment_fixed_size: 288
    .kernarg_segment_align: 8
    .kernarg_segment_size: 80
    .language:       OpenCL C
    .language_version:
      - 2
      - 0
    .max_flat_workgroup_size: 48
    .name:           _ZN9rocsparseL22gebsrmvn_mxn_16_kernelILj48ELj12ELj3E21rocsparse_complex_numIfEEEvi20rocsparse_direction_NS_24const_host_device_scalarIT2_EEPKiS8_PKS5_iiSA_S6_PS5_21rocsparse_index_base_b
    .private_segment_fixed_size: 0
    .sgpr_count:     22
    .sgpr_spill_count: 0
    .symbol:         _ZN9rocsparseL22gebsrmvn_mxn_16_kernelILj48ELj12ELj3E21rocsparse_complex_numIfEEEvi20rocsparse_direction_NS_24const_host_device_scalarIT2_EEPKiS8_PKS5_iiSA_S6_PS5_21rocsparse_index_base_b.kd
    .uniform_work_group_size: 1
    .uses_dynamic_stack: false
    .vgpr_count:     18
    .vgpr_spill_count: 0
    .wavefront_size: 64
  - .args:
      - .offset:         0
        .size:           4
        .value_kind:     by_value
      - .offset:         4
        .size:           4
        .value_kind:     by_value
      - .offset:         8
        .size:           8
        .value_kind:     by_value
      - .actual_access:  read_only
        .address_space:  global
        .offset:         16
        .size:           8
        .value_kind:     global_buffer
      - .actual_access:  read_only
        .address_space:  global
        .offset:         24
        .size:           8
        .value_kind:     global_buffer
      - .actual_access:  read_only
        .address_space:  global
        .offset:         32
        .size:           8
        .value_kind:     global_buffer
      - .offset:         40
        .size:           4
        .value_kind:     by_value
      - .offset:         44
        .size:           4
        .value_kind:     by_value
      - .actual_access:  read_only
        .address_space:  global
        .offset:         48
        .size:           8
        .value_kind:     global_buffer
      - .offset:         56
        .size:           8
        .value_kind:     by_value
      - .address_space:  global
        .offset:         64
        .size:           8
        .value_kind:     global_buffer
      - .offset:         72
        .size:           4
        .value_kind:     by_value
      - .offset:         76
        .size:           1
        .value_kind:     by_value
    .group_segment_fixed_size: 384
    .kernarg_segment_align: 8
    .kernarg_segment_size: 80
    .language:       OpenCL C
    .language_version:
      - 2
      - 0
    .max_flat_workgroup_size: 60
    .name:           _ZN9rocsparseL22gebsrmvn_mxn_16_kernelILj60ELj12ELj4E21rocsparse_complex_numIfEEEvi20rocsparse_direction_NS_24const_host_device_scalarIT2_EEPKiS8_PKS5_iiSA_S6_PS5_21rocsparse_index_base_b
    .private_segment_fixed_size: 0
    .sgpr_count:     22
    .sgpr_spill_count: 0
    .symbol:         _ZN9rocsparseL22gebsrmvn_mxn_16_kernelILj60ELj12ELj4E21rocsparse_complex_numIfEEEvi20rocsparse_direction_NS_24const_host_device_scalarIT2_EEPKiS8_PKS5_iiSA_S6_PS5_21rocsparse_index_base_b.kd
    .uniform_work_group_size: 1
    .uses_dynamic_stack: false
    .vgpr_count:     17
    .vgpr_spill_count: 0
    .wavefront_size: 64
  - .args:
      - .offset:         0
        .size:           4
        .value_kind:     by_value
      - .offset:         4
        .size:           4
        .value_kind:     by_value
      - .offset:         8
        .size:           8
        .value_kind:     by_value
      - .actual_access:  read_only
        .address_space:  global
        .offset:         16
        .size:           8
        .value_kind:     global_buffer
      - .actual_access:  read_only
        .address_space:  global
        .offset:         24
        .size:           8
        .value_kind:     global_buffer
      - .actual_access:  read_only
        .address_space:  global
        .offset:         32
        .size:           8
        .value_kind:     global_buffer
      - .offset:         40
        .size:           4
        .value_kind:     by_value
      - .offset:         44
        .size:           4
        .value_kind:     by_value
      - .actual_access:  read_only
        .address_space:  global
        .offset:         48
        .size:           8
        .value_kind:     global_buffer
      - .offset:         56
        .size:           8
        .value_kind:     by_value
      - .address_space:  global
        .offset:         64
        .size:           8
        .value_kind:     global_buffer
      - .offset:         72
        .size:           4
        .value_kind:     by_value
      - .offset:         76
        .size:           1
        .value_kind:     by_value
    .group_segment_fixed_size: 480
    .kernarg_segment_align: 8
    .kernarg_segment_size: 80
    .language:       OpenCL C
    .language_version:
      - 2
      - 0
    .max_flat_workgroup_size: 60
    .name:           _ZN9rocsparseL22gebsrmvn_mxn_16_kernelILj60ELj12ELj5E21rocsparse_complex_numIfEEEvi20rocsparse_direction_NS_24const_host_device_scalarIT2_EEPKiS8_PKS5_iiSA_S6_PS5_21rocsparse_index_base_b
    .private_segment_fixed_size: 0
    .sgpr_count:     22
    .sgpr_spill_count: 0
    .symbol:         _ZN9rocsparseL22gebsrmvn_mxn_16_kernelILj60ELj12ELj5E21rocsparse_complex_numIfEEEvi20rocsparse_direction_NS_24const_host_device_scalarIT2_EEPKiS8_PKS5_iiSA_S6_PS5_21rocsparse_index_base_b.kd
    .uniform_work_group_size: 1
    .uses_dynamic_stack: false
    .vgpr_count:     18
    .vgpr_spill_count: 0
    .wavefront_size: 64
  - .args:
      - .offset:         0
        .size:           4
        .value_kind:     by_value
      - .offset:         4
        .size:           4
        .value_kind:     by_value
      - .offset:         8
        .size:           8
        .value_kind:     by_value
      - .actual_access:  read_only
        .address_space:  global
        .offset:         16
        .size:           8
        .value_kind:     global_buffer
      - .actual_access:  read_only
        .address_space:  global
        .offset:         24
        .size:           8
        .value_kind:     global_buffer
      - .actual_access:  read_only
        .address_space:  global
        .offset:         32
        .size:           8
        .value_kind:     global_buffer
      - .offset:         40
        .size:           4
        .value_kind:     by_value
      - .offset:         44
        .size:           4
        .value_kind:     by_value
      - .actual_access:  read_only
        .address_space:  global
        .offset:         48
        .size:           8
        .value_kind:     global_buffer
      - .offset:         56
        .size:           8
        .value_kind:     by_value
      - .address_space:  global
        .offset:         64
        .size:           8
        .value_kind:     global_buffer
      - .offset:         72
        .size:           4
        .value_kind:     by_value
      - .offset:         76
        .size:           1
        .value_kind:     by_value
    .group_segment_fixed_size: 576
    .kernarg_segment_align: 8
    .kernarg_segment_size: 80
    .language:       OpenCL C
    .language_version:
      - 2
      - 0
    .max_flat_workgroup_size: 72
    .name:           _ZN9rocsparseL22gebsrmvn_mxn_16_kernelILj72ELj12ELj6E21rocsparse_complex_numIfEEEvi20rocsparse_direction_NS_24const_host_device_scalarIT2_EEPKiS8_PKS5_iiSA_S6_PS5_21rocsparse_index_base_b
    .private_segment_fixed_size: 0
    .sgpr_count:     22
    .sgpr_spill_count: 0
    .symbol:         _ZN9rocsparseL22gebsrmvn_mxn_16_kernelILj72ELj12ELj6E21rocsparse_complex_numIfEEEvi20rocsparse_direction_NS_24const_host_device_scalarIT2_EEPKiS8_PKS5_iiSA_S6_PS5_21rocsparse_index_base_b.kd
    .uniform_work_group_size: 1
    .uses_dynamic_stack: false
    .vgpr_count:     18
    .vgpr_spill_count: 0
    .wavefront_size: 64
  - .args:
      - .offset:         0
        .size:           4
        .value_kind:     by_value
      - .offset:         4
        .size:           4
        .value_kind:     by_value
      - .offset:         8
        .size:           8
        .value_kind:     by_value
      - .actual_access:  read_only
        .address_space:  global
        .offset:         16
        .size:           8
        .value_kind:     global_buffer
      - .actual_access:  read_only
        .address_space:  global
        .offset:         24
        .size:           8
        .value_kind:     global_buffer
      - .actual_access:  read_only
        .address_space:  global
        .offset:         32
        .size:           8
        .value_kind:     global_buffer
      - .offset:         40
        .size:           4
        .value_kind:     by_value
      - .offset:         44
        .size:           4
        .value_kind:     by_value
      - .actual_access:  read_only
        .address_space:  global
        .offset:         48
        .size:           8
        .value_kind:     global_buffer
      - .offset:         56
        .size:           8
        .value_kind:     by_value
      - .address_space:  global
        .offset:         64
        .size:           8
        .value_kind:     global_buffer
      - .offset:         72
        .size:           4
        .value_kind:     by_value
      - .offset:         76
        .size:           1
        .value_kind:     by_value
    .group_segment_fixed_size: 672
    .kernarg_segment_align: 8
    .kernarg_segment_size: 80
    .language:       OpenCL C
    .language_version:
      - 2
      - 0
    .max_flat_workgroup_size: 84
    .name:           _ZN9rocsparseL22gebsrmvn_mxn_16_kernelILj84ELj12ELj7E21rocsparse_complex_numIfEEEvi20rocsparse_direction_NS_24const_host_device_scalarIT2_EEPKiS8_PKS5_iiSA_S6_PS5_21rocsparse_index_base_b
    .private_segment_fixed_size: 0
    .sgpr_count:     22
    .sgpr_spill_count: 0
    .symbol:         _ZN9rocsparseL22gebsrmvn_mxn_16_kernelILj84ELj12ELj7E21rocsparse_complex_numIfEEEvi20rocsparse_direction_NS_24const_host_device_scalarIT2_EEPKiS8_PKS5_iiSA_S6_PS5_21rocsparse_index_base_b.kd
    .uniform_work_group_size: 1
    .uses_dynamic_stack: false
    .vgpr_count:     18
    .vgpr_spill_count: 0
    .wavefront_size: 64
  - .args:
      - .offset:         0
        .size:           4
        .value_kind:     by_value
      - .offset:         4
        .size:           4
        .value_kind:     by_value
      - .offset:         8
        .size:           8
        .value_kind:     by_value
      - .actual_access:  read_only
        .address_space:  global
        .offset:         16
        .size:           8
        .value_kind:     global_buffer
      - .actual_access:  read_only
        .address_space:  global
        .offset:         24
        .size:           8
        .value_kind:     global_buffer
      - .actual_access:  read_only
        .address_space:  global
        .offset:         32
        .size:           8
        .value_kind:     global_buffer
      - .offset:         40
        .size:           4
        .value_kind:     by_value
      - .offset:         44
        .size:           4
        .value_kind:     by_value
      - .actual_access:  read_only
        .address_space:  global
        .offset:         48
        .size:           8
        .value_kind:     global_buffer
      - .offset:         56
        .size:           8
        .value_kind:     by_value
      - .address_space:  global
        .offset:         64
        .size:           8
        .value_kind:     global_buffer
      - .offset:         72
        .size:           4
        .value_kind:     by_value
      - .offset:         76
        .size:           1
        .value_kind:     by_value
    .group_segment_fixed_size: 768
    .kernarg_segment_align: 8
    .kernarg_segment_size: 80
    .language:       OpenCL C
    .language_version:
      - 2
      - 0
    .max_flat_workgroup_size: 96
    .name:           _ZN9rocsparseL22gebsrmvn_mxn_16_kernelILj96ELj12ELj8E21rocsparse_complex_numIfEEEvi20rocsparse_direction_NS_24const_host_device_scalarIT2_EEPKiS8_PKS5_iiSA_S6_PS5_21rocsparse_index_base_b
    .private_segment_fixed_size: 0
    .sgpr_count:     22
    .sgpr_spill_count: 0
    .symbol:         _ZN9rocsparseL22gebsrmvn_mxn_16_kernelILj96ELj12ELj8E21rocsparse_complex_numIfEEEvi20rocsparse_direction_NS_24const_host_device_scalarIT2_EEPKiS8_PKS5_iiSA_S6_PS5_21rocsparse_index_base_b.kd
    .uniform_work_group_size: 1
    .uses_dynamic_stack: false
    .vgpr_count:     17
    .vgpr_spill_count: 0
    .wavefront_size: 64
  - .args:
      - .offset:         0
        .size:           4
        .value_kind:     by_value
      - .offset:         4
        .size:           4
        .value_kind:     by_value
      - .offset:         8
        .size:           16
        .value_kind:     by_value
      - .actual_access:  read_only
        .address_space:  global
        .offset:         24
        .size:           8
        .value_kind:     global_buffer
      - .actual_access:  read_only
        .address_space:  global
        .offset:         32
        .size:           8
        .value_kind:     global_buffer
      - .actual_access:  read_only
        .address_space:  global
        .offset:         40
        .size:           8
        .value_kind:     global_buffer
      - .offset:         48
        .size:           4
        .value_kind:     by_value
      - .offset:         52
        .size:           4
        .value_kind:     by_value
      - .actual_access:  read_only
        .address_space:  global
        .offset:         56
        .size:           8
        .value_kind:     global_buffer
      - .offset:         64
        .size:           16
        .value_kind:     by_value
      - .address_space:  global
        .offset:         80
        .size:           8
        .value_kind:     global_buffer
      - .offset:         88
        .size:           4
        .value_kind:     by_value
      - .offset:         92
        .size:           1
        .value_kind:     by_value
    .group_segment_fixed_size: 1008
    .kernarg_segment_align: 8
    .kernarg_segment_size: 96
    .language:       OpenCL C
    .language_version:
      - 2
      - 0
    .max_flat_workgroup_size: 63
    .name:           _ZN9rocsparseL22gebsrmvn_mxn_16_kernelILj63ELj9ELj1E21rocsparse_complex_numIdEEEvi20rocsparse_direction_NS_24const_host_device_scalarIT2_EEPKiS8_PKS5_iiSA_S6_PS5_21rocsparse_index_base_b
    .private_segment_fixed_size: 0
    .sgpr_count:     20
    .sgpr_spill_count: 0
    .symbol:         _ZN9rocsparseL22gebsrmvn_mxn_16_kernelILj63ELj9ELj1E21rocsparse_complex_numIdEEEvi20rocsparse_direction_NS_24const_host_device_scalarIT2_EEPKiS8_PKS5_iiSA_S6_PS5_21rocsparse_index_base_b.kd
    .uniform_work_group_size: 1
    .uses_dynamic_stack: false
    .vgpr_count:     26
    .vgpr_spill_count: 0
    .wavefront_size: 64
  - .args:
      - .offset:         0
        .size:           4
        .value_kind:     by_value
      - .offset:         4
        .size:           4
        .value_kind:     by_value
      - .offset:         8
        .size:           16
        .value_kind:     by_value
      - .actual_access:  read_only
        .address_space:  global
        .offset:         24
        .size:           8
        .value_kind:     global_buffer
      - .actual_access:  read_only
        .address_space:  global
        .offset:         32
        .size:           8
        .value_kind:     global_buffer
      - .actual_access:  read_only
        .address_space:  global
        .offset:         40
        .size:           8
        .value_kind:     global_buffer
      - .offset:         48
        .size:           4
        .value_kind:     by_value
      - .offset:         52
        .size:           4
        .value_kind:     by_value
      - .actual_access:  read_only
        .address_space:  global
        .offset:         56
        .size:           8
        .value_kind:     global_buffer
      - .offset:         64
        .size:           16
        .value_kind:     by_value
      - .address_space:  global
        .offset:         80
        .size:           8
        .value_kind:     global_buffer
      - .offset:         88
        .size:           4
        .value_kind:     by_value
      - .offset:         92
        .size:           1
        .value_kind:     by_value
    .group_segment_fixed_size: 864
    .kernarg_segment_align: 8
    .kernarg_segment_size: 96
    .language:       OpenCL C
    .language_version:
      - 2
      - 0
    .max_flat_workgroup_size: 54
    .name:           _ZN9rocsparseL22gebsrmvn_mxn_16_kernelILj54ELj9ELj2E21rocsparse_complex_numIdEEEvi20rocsparse_direction_NS_24const_host_device_scalarIT2_EEPKiS8_PKS5_iiSA_S6_PS5_21rocsparse_index_base_b
    .private_segment_fixed_size: 0
    .sgpr_count:     22
    .sgpr_spill_count: 0
    .symbol:         _ZN9rocsparseL22gebsrmvn_mxn_16_kernelILj54ELj9ELj2E21rocsparse_complex_numIdEEEvi20rocsparse_direction_NS_24const_host_device_scalarIT2_EEPKiS8_PKS5_iiSA_S6_PS5_21rocsparse_index_base_b.kd
    .uniform_work_group_size: 1
    .uses_dynamic_stack: false
    .vgpr_count:     28
    .vgpr_spill_count: 0
    .wavefront_size: 64
  - .args:
      - .offset:         0
        .size:           4
        .value_kind:     by_value
      - .offset:         4
        .size:           4
        .value_kind:     by_value
      - .offset:         8
        .size:           16
        .value_kind:     by_value
      - .actual_access:  read_only
        .address_space:  global
        .offset:         24
        .size:           8
        .value_kind:     global_buffer
      - .actual_access:  read_only
        .address_space:  global
        .offset:         32
        .size:           8
        .value_kind:     global_buffer
      - .actual_access:  read_only
        .address_space:  global
        .offset:         40
        .size:           8
        .value_kind:     global_buffer
      - .offset:         48
        .size:           4
        .value_kind:     by_value
      - .offset:         52
        .size:           4
        .value_kind:     by_value
      - .actual_access:  read_only
        .address_space:  global
        .offset:         56
        .size:           8
        .value_kind:     global_buffer
      - .offset:         64
        .size:           16
        .value_kind:     by_value
      - .address_space:  global
        .offset:         80
        .size:           8
        .value_kind:     global_buffer
      - .offset:         88
        .size:           4
        .value_kind:     by_value
      - .offset:         92
        .size:           1
        .value_kind:     by_value
    .group_segment_fixed_size: 864
    .kernarg_segment_align: 8
    .kernarg_segment_size: 96
    .language:       OpenCL C
    .language_version:
      - 2
      - 0
    .max_flat_workgroup_size: 54
    .name:           _ZN9rocsparseL22gebsrmvn_mxn_16_kernelILj54ELj9ELj3E21rocsparse_complex_numIdEEEvi20rocsparse_direction_NS_24const_host_device_scalarIT2_EEPKiS8_PKS5_iiSA_S6_PS5_21rocsparse_index_base_b
    .private_segment_fixed_size: 0
    .sgpr_count:     22
    .sgpr_spill_count: 0
    .symbol:         _ZN9rocsparseL22gebsrmvn_mxn_16_kernelILj54ELj9ELj3E21rocsparse_complex_numIdEEEvi20rocsparse_direction_NS_24const_host_device_scalarIT2_EEPKiS8_PKS5_iiSA_S6_PS5_21rocsparse_index_base_b.kd
    .uniform_work_group_size: 1
    .uses_dynamic_stack: false
    .vgpr_count:     28
    .vgpr_spill_count: 0
    .wavefront_size: 64
  - .args:
      - .offset:         0
        .size:           4
        .value_kind:     by_value
      - .offset:         4
        .size:           4
        .value_kind:     by_value
      - .offset:         8
        .size:           16
        .value_kind:     by_value
      - .actual_access:  read_only
        .address_space:  global
        .offset:         24
        .size:           8
        .value_kind:     global_buffer
      - .actual_access:  read_only
        .address_space:  global
        .offset:         32
        .size:           8
        .value_kind:     global_buffer
      - .actual_access:  read_only
        .address_space:  global
        .offset:         40
        .size:           8
        .value_kind:     global_buffer
      - .offset:         48
        .size:           4
        .value_kind:     by_value
      - .offset:         52
        .size:           4
        .value_kind:     by_value
      - .actual_access:  read_only
        .address_space:  global
        .offset:         56
        .size:           8
        .value_kind:     global_buffer
      - .offset:         64
        .size:           16
        .value_kind:     by_value
      - .address_space:  global
        .offset:         80
        .size:           8
        .value_kind:     global_buffer
      - .offset:         88
        .size:           4
        .value_kind:     by_value
      - .offset:         92
        .size:           1
        .value_kind:     by_value
    .group_segment_fixed_size: 576
    .kernarg_segment_align: 8
    .kernarg_segment_size: 96
    .language:       OpenCL C
    .language_version:
      - 2
      - 0
    .max_flat_workgroup_size: 36
    .name:           _ZN9rocsparseL22gebsrmvn_mxn_16_kernelILj36ELj9ELj4E21rocsparse_complex_numIdEEEvi20rocsparse_direction_NS_24const_host_device_scalarIT2_EEPKiS8_PKS5_iiSA_S6_PS5_21rocsparse_index_base_b
    .private_segment_fixed_size: 0
    .sgpr_count:     22
    .sgpr_spill_count: 0
    .symbol:         _ZN9rocsparseL22gebsrmvn_mxn_16_kernelILj36ELj9ELj4E21rocsparse_complex_numIdEEEvi20rocsparse_direction_NS_24const_host_device_scalarIT2_EEPKiS8_PKS5_iiSA_S6_PS5_21rocsparse_index_base_b.kd
    .uniform_work_group_size: 1
    .uses_dynamic_stack: false
    .vgpr_count:     28
    .vgpr_spill_count: 0
    .wavefront_size: 64
  - .args:
      - .offset:         0
        .size:           4
        .value_kind:     by_value
      - .offset:         4
        .size:           4
        .value_kind:     by_value
      - .offset:         8
        .size:           16
        .value_kind:     by_value
      - .actual_access:  read_only
        .address_space:  global
        .offset:         24
        .size:           8
        .value_kind:     global_buffer
      - .actual_access:  read_only
        .address_space:  global
        .offset:         32
        .size:           8
        .value_kind:     global_buffer
      - .actual_access:  read_only
        .address_space:  global
        .offset:         40
        .size:           8
        .value_kind:     global_buffer
      - .offset:         48
        .size:           4
        .value_kind:     by_value
      - .offset:         52
        .size:           4
        .value_kind:     by_value
      - .actual_access:  read_only
        .address_space:  global
        .offset:         56
        .size:           8
        .value_kind:     global_buffer
      - .offset:         64
        .size:           16
        .value_kind:     by_value
      - .address_space:  global
        .offset:         80
        .size:           8
        .value_kind:     global_buffer
      - .offset:         88
        .size:           4
        .value_kind:     by_value
      - .offset:         92
        .size:           1
        .value_kind:     by_value
    .group_segment_fixed_size: 720
    .kernarg_segment_align: 8
    .kernarg_segment_size: 96
    .language:       OpenCL C
    .language_version:
      - 2
      - 0
    .max_flat_workgroup_size: 45
    .name:           _ZN9rocsparseL22gebsrmvn_mxn_16_kernelILj45ELj9ELj5E21rocsparse_complex_numIdEEEvi20rocsparse_direction_NS_24const_host_device_scalarIT2_EEPKiS8_PKS5_iiSA_S6_PS5_21rocsparse_index_base_b
    .private_segment_fixed_size: 0
    .sgpr_count:     22
    .sgpr_spill_count: 0
    .symbol:         _ZN9rocsparseL22gebsrmvn_mxn_16_kernelILj45ELj9ELj5E21rocsparse_complex_numIdEEEvi20rocsparse_direction_NS_24const_host_device_scalarIT2_EEPKiS8_PKS5_iiSA_S6_PS5_21rocsparse_index_base_b.kd
    .uniform_work_group_size: 1
    .uses_dynamic_stack: false
    .vgpr_count:     28
    .vgpr_spill_count: 0
    .wavefront_size: 64
  - .args:
      - .offset:         0
        .size:           4
        .value_kind:     by_value
      - .offset:         4
        .size:           4
        .value_kind:     by_value
      - .offset:         8
        .size:           16
        .value_kind:     by_value
      - .actual_access:  read_only
        .address_space:  global
        .offset:         24
        .size:           8
        .value_kind:     global_buffer
      - .actual_access:  read_only
        .address_space:  global
        .offset:         32
        .size:           8
        .value_kind:     global_buffer
      - .actual_access:  read_only
        .address_space:  global
        .offset:         40
        .size:           8
        .value_kind:     global_buffer
      - .offset:         48
        .size:           4
        .value_kind:     by_value
      - .offset:         52
        .size:           4
        .value_kind:     by_value
      - .actual_access:  read_only
        .address_space:  global
        .offset:         56
        .size:           8
        .value_kind:     global_buffer
      - .offset:         64
        .size:           16
        .value_kind:     by_value
      - .address_space:  global
        .offset:         80
        .size:           8
        .value_kind:     global_buffer
      - .offset:         88
        .size:           4
        .value_kind:     by_value
      - .offset:         92
        .size:           1
        .value_kind:     by_value
    .group_segment_fixed_size: 864
    .kernarg_segment_align: 8
    .kernarg_segment_size: 96
    .language:       OpenCL C
    .language_version:
      - 2
      - 0
    .max_flat_workgroup_size: 54
    .name:           _ZN9rocsparseL22gebsrmvn_mxn_16_kernelILj54ELj9ELj6E21rocsparse_complex_numIdEEEvi20rocsparse_direction_NS_24const_host_device_scalarIT2_EEPKiS8_PKS5_iiSA_S6_PS5_21rocsparse_index_base_b
    .private_segment_fixed_size: 0
    .sgpr_count:     22
    .sgpr_spill_count: 0
    .symbol:         _ZN9rocsparseL22gebsrmvn_mxn_16_kernelILj54ELj9ELj6E21rocsparse_complex_numIdEEEvi20rocsparse_direction_NS_24const_host_device_scalarIT2_EEPKiS8_PKS5_iiSA_S6_PS5_21rocsparse_index_base_b.kd
    .uniform_work_group_size: 1
    .uses_dynamic_stack: false
    .vgpr_count:     28
    .vgpr_spill_count: 0
    .wavefront_size: 64
  - .args:
      - .offset:         0
        .size:           4
        .value_kind:     by_value
      - .offset:         4
        .size:           4
        .value_kind:     by_value
      - .offset:         8
        .size:           16
        .value_kind:     by_value
      - .actual_access:  read_only
        .address_space:  global
        .offset:         24
        .size:           8
        .value_kind:     global_buffer
      - .actual_access:  read_only
        .address_space:  global
        .offset:         32
        .size:           8
        .value_kind:     global_buffer
      - .actual_access:  read_only
        .address_space:  global
        .offset:         40
        .size:           8
        .value_kind:     global_buffer
      - .offset:         48
        .size:           4
        .value_kind:     by_value
      - .offset:         52
        .size:           4
        .value_kind:     by_value
      - .actual_access:  read_only
        .address_space:  global
        .offset:         56
        .size:           8
        .value_kind:     global_buffer
      - .offset:         64
        .size:           16
        .value_kind:     by_value
      - .address_space:  global
        .offset:         80
        .size:           8
        .value_kind:     global_buffer
      - .offset:         88
        .size:           4
        .value_kind:     by_value
      - .offset:         92
        .size:           1
        .value_kind:     by_value
    .group_segment_fixed_size: 1008
    .kernarg_segment_align: 8
    .kernarg_segment_size: 96
    .language:       OpenCL C
    .language_version:
      - 2
      - 0
    .max_flat_workgroup_size: 63
    .name:           _ZN9rocsparseL22gebsrmvn_mxn_16_kernelILj63ELj9ELj7E21rocsparse_complex_numIdEEEvi20rocsparse_direction_NS_24const_host_device_scalarIT2_EEPKiS8_PKS5_iiSA_S6_PS5_21rocsparse_index_base_b
    .private_segment_fixed_size: 0
    .sgpr_count:     22
    .sgpr_spill_count: 0
    .symbol:         _ZN9rocsparseL22gebsrmvn_mxn_16_kernelILj63ELj9ELj7E21rocsparse_complex_numIdEEEvi20rocsparse_direction_NS_24const_host_device_scalarIT2_EEPKiS8_PKS5_iiSA_S6_PS5_21rocsparse_index_base_b.kd
    .uniform_work_group_size: 1
    .uses_dynamic_stack: false
    .vgpr_count:     28
    .vgpr_spill_count: 0
    .wavefront_size: 64
  - .args:
      - .offset:         0
        .size:           4
        .value_kind:     by_value
      - .offset:         4
        .size:           4
        .value_kind:     by_value
      - .offset:         8
        .size:           16
        .value_kind:     by_value
      - .actual_access:  read_only
        .address_space:  global
        .offset:         24
        .size:           8
        .value_kind:     global_buffer
      - .actual_access:  read_only
        .address_space:  global
        .offset:         32
        .size:           8
        .value_kind:     global_buffer
      - .actual_access:  read_only
        .address_space:  global
        .offset:         40
        .size:           8
        .value_kind:     global_buffer
      - .offset:         48
        .size:           4
        .value_kind:     by_value
      - .offset:         52
        .size:           4
        .value_kind:     by_value
      - .actual_access:  read_only
        .address_space:  global
        .offset:         56
        .size:           8
        .value_kind:     global_buffer
      - .offset:         64
        .size:           16
        .value_kind:     by_value
      - .address_space:  global
        .offset:         80
        .size:           8
        .value_kind:     global_buffer
      - .offset:         88
        .size:           4
        .value_kind:     by_value
      - .offset:         92
        .size:           1
        .value_kind:     by_value
    .group_segment_fixed_size: 1152
    .kernarg_segment_align: 8
    .kernarg_segment_size: 96
    .language:       OpenCL C
    .language_version:
      - 2
      - 0
    .max_flat_workgroup_size: 72
    .name:           _ZN9rocsparseL22gebsrmvn_mxn_16_kernelILj72ELj9ELj8E21rocsparse_complex_numIdEEEvi20rocsparse_direction_NS_24const_host_device_scalarIT2_EEPKiS8_PKS5_iiSA_S6_PS5_21rocsparse_index_base_b
    .private_segment_fixed_size: 0
    .sgpr_count:     22
    .sgpr_spill_count: 0
    .symbol:         _ZN9rocsparseL22gebsrmvn_mxn_16_kernelILj72ELj9ELj8E21rocsparse_complex_numIdEEEvi20rocsparse_direction_NS_24const_host_device_scalarIT2_EEPKiS8_PKS5_iiSA_S6_PS5_21rocsparse_index_base_b.kd
    .uniform_work_group_size: 1
    .uses_dynamic_stack: false
    .vgpr_count:     28
    .vgpr_spill_count: 0
    .wavefront_size: 64
  - .args:
      - .offset:         0
        .size:           4
        .value_kind:     by_value
      - .offset:         4
        .size:           4
        .value_kind:     by_value
      - .offset:         8
        .size:           16
        .value_kind:     by_value
      - .actual_access:  read_only
        .address_space:  global
        .offset:         24
        .size:           8
        .value_kind:     global_buffer
      - .actual_access:  read_only
        .address_space:  global
        .offset:         32
        .size:           8
        .value_kind:     global_buffer
      - .actual_access:  read_only
        .address_space:  global
        .offset:         40
        .size:           8
        .value_kind:     global_buffer
      - .offset:         48
        .size:           4
        .value_kind:     by_value
      - .offset:         52
        .size:           4
        .value_kind:     by_value
      - .actual_access:  read_only
        .address_space:  global
        .offset:         56
        .size:           8
        .value_kind:     global_buffer
      - .offset:         64
        .size:           16
        .value_kind:     by_value
      - .address_space:  global
        .offset:         80
        .size:           8
        .value_kind:     global_buffer
      - .offset:         88
        .size:           4
        .value_kind:     by_value
      - .offset:         92
        .size:           1
        .value_kind:     by_value
    .group_segment_fixed_size: 0
    .kernarg_segment_align: 8
    .kernarg_segment_size: 96
    .language:       OpenCL C
    .language_version:
      - 2
      - 0
    .max_flat_workgroup_size: 256
    .name:           _ZN9rocsparseL23gebsrmvn_general_kernelILj256ELj16E21rocsparse_complex_numIdEEEvi20rocsparse_direction_NS_24const_host_device_scalarIT1_EEPKiS8_PKS5_iiSA_S6_PS5_21rocsparse_index_base_b
    .private_segment_fixed_size: 0
    .sgpr_count:     42
    .sgpr_spill_count: 0
    .symbol:         _ZN9rocsparseL23gebsrmvn_general_kernelILj256ELj16E21rocsparse_complex_numIdEEEvi20rocsparse_direction_NS_24const_host_device_scalarIT1_EEPKiS8_PKS5_iiSA_S6_PS5_21rocsparse_index_base_b.kd
    .uniform_work_group_size: 1
    .uses_dynamic_stack: false
    .vgpr_count:     27
    .vgpr_spill_count: 0
    .wavefront_size: 64
  - .args:
      - .offset:         0
        .size:           4
        .value_kind:     by_value
      - .offset:         4
        .size:           4
        .value_kind:     by_value
      - .offset:         8
        .size:           16
        .value_kind:     by_value
      - .actual_access:  read_only
        .address_space:  global
        .offset:         24
        .size:           8
        .value_kind:     global_buffer
      - .actual_access:  read_only
        .address_space:  global
        .offset:         32
        .size:           8
        .value_kind:     global_buffer
      - .actual_access:  read_only
        .address_space:  global
        .offset:         40
        .size:           8
        .value_kind:     global_buffer
      - .offset:         48
        .size:           4
        .value_kind:     by_value
      - .offset:         52
        .size:           4
        .value_kind:     by_value
      - .actual_access:  read_only
        .address_space:  global
        .offset:         56
        .size:           8
        .value_kind:     global_buffer
      - .offset:         64
        .size:           16
        .value_kind:     by_value
      - .address_space:  global
        .offset:         80
        .size:           8
        .value_kind:     global_buffer
      - .offset:         88
        .size:           4
        .value_kind:     by_value
      - .offset:         92
        .size:           1
        .value_kind:     by_value
    .group_segment_fixed_size: 0
    .kernarg_segment_align: 8
    .kernarg_segment_size: 96
    .language:       OpenCL C
    .language_version:
      - 2
      - 0
    .max_flat_workgroup_size: 512
    .name:           _ZN9rocsparseL23gebsrmvn_general_kernelILj512ELj32E21rocsparse_complex_numIdEEEvi20rocsparse_direction_NS_24const_host_device_scalarIT1_EEPKiS8_PKS5_iiSA_S6_PS5_21rocsparse_index_base_b
    .private_segment_fixed_size: 0
    .sgpr_count:     42
    .sgpr_spill_count: 0
    .symbol:         _ZN9rocsparseL23gebsrmvn_general_kernelILj512ELj32E21rocsparse_complex_numIdEEEvi20rocsparse_direction_NS_24const_host_device_scalarIT1_EEPKiS8_PKS5_iiSA_S6_PS5_21rocsparse_index_base_b.kd
    .uniform_work_group_size: 1
    .uses_dynamic_stack: false
    .vgpr_count:     27
    .vgpr_spill_count: 0
    .wavefront_size: 64
  - .args:
      - .offset:         0
        .size:           4
        .value_kind:     by_value
      - .offset:         4
        .size:           4
        .value_kind:     by_value
      - .offset:         8
        .size:           16
        .value_kind:     by_value
      - .actual_access:  read_only
        .address_space:  global
        .offset:         24
        .size:           8
        .value_kind:     global_buffer
      - .actual_access:  read_only
        .address_space:  global
        .offset:         32
        .size:           8
        .value_kind:     global_buffer
      - .actual_access:  read_only
        .address_space:  global
        .offset:         40
        .size:           8
        .value_kind:     global_buffer
      - .offset:         48
        .size:           4
        .value_kind:     by_value
      - .offset:         52
        .size:           4
        .value_kind:     by_value
      - .actual_access:  read_only
        .address_space:  global
        .offset:         56
        .size:           8
        .value_kind:     global_buffer
      - .offset:         64
        .size:           16
        .value_kind:     by_value
      - .address_space:  global
        .offset:         80
        .size:           8
        .value_kind:     global_buffer
      - .offset:         88
        .size:           4
        .value_kind:     by_value
      - .offset:         92
        .size:           1
        .value_kind:     by_value
    .group_segment_fixed_size: 960
    .kernarg_segment_align: 8
    .kernarg_segment_size: 96
    .language:       OpenCL C
    .language_version:
      - 2
      - 0
    .max_flat_workgroup_size: 60
    .name:           _ZN9rocsparseL22gebsrmvn_mxn_16_kernelILj60ELj10ELj1E21rocsparse_complex_numIdEEEvi20rocsparse_direction_NS_24const_host_device_scalarIT2_EEPKiS8_PKS5_iiSA_S6_PS5_21rocsparse_index_base_b
    .private_segment_fixed_size: 0
    .sgpr_count:     20
    .sgpr_spill_count: 0
    .symbol:         _ZN9rocsparseL22gebsrmvn_mxn_16_kernelILj60ELj10ELj1E21rocsparse_complex_numIdEEEvi20rocsparse_direction_NS_24const_host_device_scalarIT2_EEPKiS8_PKS5_iiSA_S6_PS5_21rocsparse_index_base_b.kd
    .uniform_work_group_size: 1
    .uses_dynamic_stack: false
    .vgpr_count:     26
    .vgpr_spill_count: 0
    .wavefront_size: 64
  - .args:
      - .offset:         0
        .size:           4
        .value_kind:     by_value
      - .offset:         4
        .size:           4
        .value_kind:     by_value
      - .offset:         8
        .size:           16
        .value_kind:     by_value
      - .actual_access:  read_only
        .address_space:  global
        .offset:         24
        .size:           8
        .value_kind:     global_buffer
      - .actual_access:  read_only
        .address_space:  global
        .offset:         32
        .size:           8
        .value_kind:     global_buffer
      - .actual_access:  read_only
        .address_space:  global
        .offset:         40
        .size:           8
        .value_kind:     global_buffer
      - .offset:         48
        .size:           4
        .value_kind:     by_value
      - .offset:         52
        .size:           4
        .value_kind:     by_value
      - .actual_access:  read_only
        .address_space:  global
        .offset:         56
        .size:           8
        .value_kind:     global_buffer
      - .offset:         64
        .size:           16
        .value_kind:     by_value
      - .address_space:  global
        .offset:         80
        .size:           8
        .value_kind:     global_buffer
      - .offset:         88
        .size:           4
        .value_kind:     by_value
      - .offset:         92
        .size:           1
        .value_kind:     by_value
    .group_segment_fixed_size: 960
    .kernarg_segment_align: 8
    .kernarg_segment_size: 96
    .language:       OpenCL C
    .language_version:
      - 2
      - 0
    .max_flat_workgroup_size: 60
    .name:           _ZN9rocsparseL22gebsrmvn_mxn_16_kernelILj60ELj10ELj2E21rocsparse_complex_numIdEEEvi20rocsparse_direction_NS_24const_host_device_scalarIT2_EEPKiS8_PKS5_iiSA_S6_PS5_21rocsparse_index_base_b
    .private_segment_fixed_size: 0
    .sgpr_count:     22
    .sgpr_spill_count: 0
    .symbol:         _ZN9rocsparseL22gebsrmvn_mxn_16_kernelILj60ELj10ELj2E21rocsparse_complex_numIdEEEvi20rocsparse_direction_NS_24const_host_device_scalarIT2_EEPKiS8_PKS5_iiSA_S6_PS5_21rocsparse_index_base_b.kd
    .uniform_work_group_size: 1
    .uses_dynamic_stack: false
    .vgpr_count:     28
    .vgpr_spill_count: 0
    .wavefront_size: 64
  - .args:
      - .offset:         0
        .size:           4
        .value_kind:     by_value
      - .offset:         4
        .size:           4
        .value_kind:     by_value
      - .offset:         8
        .size:           16
        .value_kind:     by_value
      - .actual_access:  read_only
        .address_space:  global
        .offset:         24
        .size:           8
        .value_kind:     global_buffer
      - .actual_access:  read_only
        .address_space:  global
        .offset:         32
        .size:           8
        .value_kind:     global_buffer
      - .actual_access:  read_only
        .address_space:  global
        .offset:         40
        .size:           8
        .value_kind:     global_buffer
      - .offset:         48
        .size:           4
        .value_kind:     by_value
      - .offset:         52
        .size:           4
        .value_kind:     by_value
      - .actual_access:  read_only
        .address_space:  global
        .offset:         56
        .size:           8
        .value_kind:     global_buffer
      - .offset:         64
        .size:           16
        .value_kind:     by_value
      - .address_space:  global
        .offset:         80
        .size:           8
        .value_kind:     global_buffer
      - .offset:         88
        .size:           4
        .value_kind:     by_value
      - .offset:         92
        .size:           1
        .value_kind:     by_value
    .group_segment_fixed_size: 960
    .kernarg_segment_align: 8
    .kernarg_segment_size: 96
    .language:       OpenCL C
    .language_version:
      - 2
      - 0
    .max_flat_workgroup_size: 60
    .name:           _ZN9rocsparseL22gebsrmvn_mxn_16_kernelILj60ELj10ELj3E21rocsparse_complex_numIdEEEvi20rocsparse_direction_NS_24const_host_device_scalarIT2_EEPKiS8_PKS5_iiSA_S6_PS5_21rocsparse_index_base_b
    .private_segment_fixed_size: 0
    .sgpr_count:     22
    .sgpr_spill_count: 0
    .symbol:         _ZN9rocsparseL22gebsrmvn_mxn_16_kernelILj60ELj10ELj3E21rocsparse_complex_numIdEEEvi20rocsparse_direction_NS_24const_host_device_scalarIT2_EEPKiS8_PKS5_iiSA_S6_PS5_21rocsparse_index_base_b.kd
    .uniform_work_group_size: 1
    .uses_dynamic_stack: false
    .vgpr_count:     28
    .vgpr_spill_count: 0
    .wavefront_size: 64
  - .args:
      - .offset:         0
        .size:           4
        .value_kind:     by_value
      - .offset:         4
        .size:           4
        .value_kind:     by_value
      - .offset:         8
        .size:           16
        .value_kind:     by_value
      - .actual_access:  read_only
        .address_space:  global
        .offset:         24
        .size:           8
        .value_kind:     global_buffer
      - .actual_access:  read_only
        .address_space:  global
        .offset:         32
        .size:           8
        .value_kind:     global_buffer
      - .actual_access:  read_only
        .address_space:  global
        .offset:         40
        .size:           8
        .value_kind:     global_buffer
      - .offset:         48
        .size:           4
        .value_kind:     by_value
      - .offset:         52
        .size:           4
        .value_kind:     by_value
      - .actual_access:  read_only
        .address_space:  global
        .offset:         56
        .size:           8
        .value_kind:     global_buffer
      - .offset:         64
        .size:           16
        .value_kind:     by_value
      - .address_space:  global
        .offset:         80
        .size:           8
        .value_kind:     global_buffer
      - .offset:         88
        .size:           4
        .value_kind:     by_value
      - .offset:         92
        .size:           1
        .value_kind:     by_value
    .group_segment_fixed_size: 640
    .kernarg_segment_align: 8
    .kernarg_segment_size: 96
    .language:       OpenCL C
    .language_version:
      - 2
      - 0
    .max_flat_workgroup_size: 40
    .name:           _ZN9rocsparseL22gebsrmvn_mxn_16_kernelILj40ELj10ELj4E21rocsparse_complex_numIdEEEvi20rocsparse_direction_NS_24const_host_device_scalarIT2_EEPKiS8_PKS5_iiSA_S6_PS5_21rocsparse_index_base_b
    .private_segment_fixed_size: 0
    .sgpr_count:     22
    .sgpr_spill_count: 0
    .symbol:         _ZN9rocsparseL22gebsrmvn_mxn_16_kernelILj40ELj10ELj4E21rocsparse_complex_numIdEEEvi20rocsparse_direction_NS_24const_host_device_scalarIT2_EEPKiS8_PKS5_iiSA_S6_PS5_21rocsparse_index_base_b.kd
    .uniform_work_group_size: 1
    .uses_dynamic_stack: false
    .vgpr_count:     28
    .vgpr_spill_count: 0
    .wavefront_size: 64
  - .args:
      - .offset:         0
        .size:           4
        .value_kind:     by_value
      - .offset:         4
        .size:           4
        .value_kind:     by_value
      - .offset:         8
        .size:           16
        .value_kind:     by_value
      - .actual_access:  read_only
        .address_space:  global
        .offset:         24
        .size:           8
        .value_kind:     global_buffer
      - .actual_access:  read_only
        .address_space:  global
        .offset:         32
        .size:           8
        .value_kind:     global_buffer
      - .actual_access:  read_only
        .address_space:  global
        .offset:         40
        .size:           8
        .value_kind:     global_buffer
      - .offset:         48
        .size:           4
        .value_kind:     by_value
      - .offset:         52
        .size:           4
        .value_kind:     by_value
      - .actual_access:  read_only
        .address_space:  global
        .offset:         56
        .size:           8
        .value_kind:     global_buffer
      - .offset:         64
        .size:           16
        .value_kind:     by_value
      - .address_space:  global
        .offset:         80
        .size:           8
        .value_kind:     global_buffer
      - .offset:         88
        .size:           4
        .value_kind:     by_value
      - .offset:         92
        .size:           1
        .value_kind:     by_value
    .group_segment_fixed_size: 800
    .kernarg_segment_align: 8
    .kernarg_segment_size: 96
    .language:       OpenCL C
    .language_version:
      - 2
      - 0
    .max_flat_workgroup_size: 50
    .name:           _ZN9rocsparseL22gebsrmvn_mxn_16_kernelILj50ELj10ELj5E21rocsparse_complex_numIdEEEvi20rocsparse_direction_NS_24const_host_device_scalarIT2_EEPKiS8_PKS5_iiSA_S6_PS5_21rocsparse_index_base_b
    .private_segment_fixed_size: 0
    .sgpr_count:     22
    .sgpr_spill_count: 0
    .symbol:         _ZN9rocsparseL22gebsrmvn_mxn_16_kernelILj50ELj10ELj5E21rocsparse_complex_numIdEEEvi20rocsparse_direction_NS_24const_host_device_scalarIT2_EEPKiS8_PKS5_iiSA_S6_PS5_21rocsparse_index_base_b.kd
    .uniform_work_group_size: 1
    .uses_dynamic_stack: false
    .vgpr_count:     28
    .vgpr_spill_count: 0
    .wavefront_size: 64
  - .args:
      - .offset:         0
        .size:           4
        .value_kind:     by_value
      - .offset:         4
        .size:           4
        .value_kind:     by_value
      - .offset:         8
        .size:           16
        .value_kind:     by_value
      - .actual_access:  read_only
        .address_space:  global
        .offset:         24
        .size:           8
        .value_kind:     global_buffer
      - .actual_access:  read_only
        .address_space:  global
        .offset:         32
        .size:           8
        .value_kind:     global_buffer
      - .actual_access:  read_only
        .address_space:  global
        .offset:         40
        .size:           8
        .value_kind:     global_buffer
      - .offset:         48
        .size:           4
        .value_kind:     by_value
      - .offset:         52
        .size:           4
        .value_kind:     by_value
      - .actual_access:  read_only
        .address_space:  global
        .offset:         56
        .size:           8
        .value_kind:     global_buffer
      - .offset:         64
        .size:           16
        .value_kind:     by_value
      - .address_space:  global
        .offset:         80
        .size:           8
        .value_kind:     global_buffer
      - .offset:         88
        .size:           4
        .value_kind:     by_value
      - .offset:         92
        .size:           1
        .value_kind:     by_value
    .group_segment_fixed_size: 960
    .kernarg_segment_align: 8
    .kernarg_segment_size: 96
    .language:       OpenCL C
    .language_version:
      - 2
      - 0
    .max_flat_workgroup_size: 60
    .name:           _ZN9rocsparseL22gebsrmvn_mxn_16_kernelILj60ELj10ELj6E21rocsparse_complex_numIdEEEvi20rocsparse_direction_NS_24const_host_device_scalarIT2_EEPKiS8_PKS5_iiSA_S6_PS5_21rocsparse_index_base_b
    .private_segment_fixed_size: 0
    .sgpr_count:     22
    .sgpr_spill_count: 0
    .symbol:         _ZN9rocsparseL22gebsrmvn_mxn_16_kernelILj60ELj10ELj6E21rocsparse_complex_numIdEEEvi20rocsparse_direction_NS_24const_host_device_scalarIT2_EEPKiS8_PKS5_iiSA_S6_PS5_21rocsparse_index_base_b.kd
    .uniform_work_group_size: 1
    .uses_dynamic_stack: false
    .vgpr_count:     28
    .vgpr_spill_count: 0
    .wavefront_size: 64
  - .args:
      - .offset:         0
        .size:           4
        .value_kind:     by_value
      - .offset:         4
        .size:           4
        .value_kind:     by_value
      - .offset:         8
        .size:           16
        .value_kind:     by_value
      - .actual_access:  read_only
        .address_space:  global
        .offset:         24
        .size:           8
        .value_kind:     global_buffer
      - .actual_access:  read_only
        .address_space:  global
        .offset:         32
        .size:           8
        .value_kind:     global_buffer
      - .actual_access:  read_only
        .address_space:  global
        .offset:         40
        .size:           8
        .value_kind:     global_buffer
      - .offset:         48
        .size:           4
        .value_kind:     by_value
      - .offset:         52
        .size:           4
        .value_kind:     by_value
      - .actual_access:  read_only
        .address_space:  global
        .offset:         56
        .size:           8
        .value_kind:     global_buffer
      - .offset:         64
        .size:           16
        .value_kind:     by_value
      - .address_space:  global
        .offset:         80
        .size:           8
        .value_kind:     global_buffer
      - .offset:         88
        .size:           4
        .value_kind:     by_value
      - .offset:         92
        .size:           1
        .value_kind:     by_value
    .group_segment_fixed_size: 1120
    .kernarg_segment_align: 8
    .kernarg_segment_size: 96
    .language:       OpenCL C
    .language_version:
      - 2
      - 0
    .max_flat_workgroup_size: 70
    .name:           _ZN9rocsparseL22gebsrmvn_mxn_16_kernelILj70ELj10ELj7E21rocsparse_complex_numIdEEEvi20rocsparse_direction_NS_24const_host_device_scalarIT2_EEPKiS8_PKS5_iiSA_S6_PS5_21rocsparse_index_base_b
    .private_segment_fixed_size: 0
    .sgpr_count:     22
    .sgpr_spill_count: 0
    .symbol:         _ZN9rocsparseL22gebsrmvn_mxn_16_kernelILj70ELj10ELj7E21rocsparse_complex_numIdEEEvi20rocsparse_direction_NS_24const_host_device_scalarIT2_EEPKiS8_PKS5_iiSA_S6_PS5_21rocsparse_index_base_b.kd
    .uniform_work_group_size: 1
    .uses_dynamic_stack: false
    .vgpr_count:     28
    .vgpr_spill_count: 0
    .wavefront_size: 64
  - .args:
      - .offset:         0
        .size:           4
        .value_kind:     by_value
      - .offset:         4
        .size:           4
        .value_kind:     by_value
      - .offset:         8
        .size:           16
        .value_kind:     by_value
      - .actual_access:  read_only
        .address_space:  global
        .offset:         24
        .size:           8
        .value_kind:     global_buffer
      - .actual_access:  read_only
        .address_space:  global
        .offset:         32
        .size:           8
        .value_kind:     global_buffer
      - .actual_access:  read_only
        .address_space:  global
        .offset:         40
        .size:           8
        .value_kind:     global_buffer
      - .offset:         48
        .size:           4
        .value_kind:     by_value
      - .offset:         52
        .size:           4
        .value_kind:     by_value
      - .actual_access:  read_only
        .address_space:  global
        .offset:         56
        .size:           8
        .value_kind:     global_buffer
      - .offset:         64
        .size:           16
        .value_kind:     by_value
      - .address_space:  global
        .offset:         80
        .size:           8
        .value_kind:     global_buffer
      - .offset:         88
        .size:           4
        .value_kind:     by_value
      - .offset:         92
        .size:           1
        .value_kind:     by_value
    .group_segment_fixed_size: 1280
    .kernarg_segment_align: 8
    .kernarg_segment_size: 96
    .language:       OpenCL C
    .language_version:
      - 2
      - 0
    .max_flat_workgroup_size: 80
    .name:           _ZN9rocsparseL22gebsrmvn_mxn_16_kernelILj80ELj10ELj8E21rocsparse_complex_numIdEEEvi20rocsparse_direction_NS_24const_host_device_scalarIT2_EEPKiS8_PKS5_iiSA_S6_PS5_21rocsparse_index_base_b
    .private_segment_fixed_size: 0
    .sgpr_count:     22
    .sgpr_spill_count: 0
    .symbol:         _ZN9rocsparseL22gebsrmvn_mxn_16_kernelILj80ELj10ELj8E21rocsparse_complex_numIdEEEvi20rocsparse_direction_NS_24const_host_device_scalarIT2_EEPKiS8_PKS5_iiSA_S6_PS5_21rocsparse_index_base_b.kd
    .uniform_work_group_size: 1
    .uses_dynamic_stack: false
    .vgpr_count:     28
    .vgpr_spill_count: 0
    .wavefront_size: 64
  - .args:
      - .offset:         0
        .size:           4
        .value_kind:     by_value
      - .offset:         4
        .size:           4
        .value_kind:     by_value
      - .offset:         8
        .size:           16
        .value_kind:     by_value
      - .actual_access:  read_only
        .address_space:  global
        .offset:         24
        .size:           8
        .value_kind:     global_buffer
      - .actual_access:  read_only
        .address_space:  global
        .offset:         32
        .size:           8
        .value_kind:     global_buffer
      - .actual_access:  read_only
        .address_space:  global
        .offset:         40
        .size:           8
        .value_kind:     global_buffer
      - .offset:         48
        .size:           4
        .value_kind:     by_value
      - .offset:         52
        .size:           4
        .value_kind:     by_value
      - .actual_access:  read_only
        .address_space:  global
        .offset:         56
        .size:           8
        .value_kind:     global_buffer
      - .offset:         64
        .size:           16
        .value_kind:     by_value
      - .address_space:  global
        .offset:         80
        .size:           8
        .value_kind:     global_buffer
      - .offset:         88
        .size:           4
        .value_kind:     by_value
      - .offset:         92
        .size:           1
        .value_kind:     by_value
    .group_segment_fixed_size: 880
    .kernarg_segment_align: 8
    .kernarg_segment_size: 96
    .language:       OpenCL C
    .language_version:
      - 2
      - 0
    .max_flat_workgroup_size: 55
    .name:           _ZN9rocsparseL22gebsrmvn_mxn_16_kernelILj55ELj11ELj1E21rocsparse_complex_numIdEEEvi20rocsparse_direction_NS_24const_host_device_scalarIT2_EEPKiS8_PKS5_iiSA_S6_PS5_21rocsparse_index_base_b
    .private_segment_fixed_size: 0
    .sgpr_count:     20
    .sgpr_spill_count: 0
    .symbol:         _ZN9rocsparseL22gebsrmvn_mxn_16_kernelILj55ELj11ELj1E21rocsparse_complex_numIdEEEvi20rocsparse_direction_NS_24const_host_device_scalarIT2_EEPKiS8_PKS5_iiSA_S6_PS5_21rocsparse_index_base_b.kd
    .uniform_work_group_size: 1
    .uses_dynamic_stack: false
    .vgpr_count:     26
    .vgpr_spill_count: 0
    .wavefront_size: 64
  - .args:
      - .offset:         0
        .size:           4
        .value_kind:     by_value
      - .offset:         4
        .size:           4
        .value_kind:     by_value
      - .offset:         8
        .size:           16
        .value_kind:     by_value
      - .actual_access:  read_only
        .address_space:  global
        .offset:         24
        .size:           8
        .value_kind:     global_buffer
      - .actual_access:  read_only
        .address_space:  global
        .offset:         32
        .size:           8
        .value_kind:     global_buffer
      - .actual_access:  read_only
        .address_space:  global
        .offset:         40
        .size:           8
        .value_kind:     global_buffer
      - .offset:         48
        .size:           4
        .value_kind:     by_value
      - .offset:         52
        .size:           4
        .value_kind:     by_value
      - .actual_access:  read_only
        .address_space:  global
        .offset:         56
        .size:           8
        .value_kind:     global_buffer
      - .offset:         64
        .size:           16
        .value_kind:     by_value
      - .address_space:  global
        .offset:         80
        .size:           8
        .value_kind:     global_buffer
      - .offset:         88
        .size:           4
        .value_kind:     by_value
      - .offset:         92
        .size:           1
        .value_kind:     by_value
    .group_segment_fixed_size: 704
    .kernarg_segment_align: 8
    .kernarg_segment_size: 96
    .language:       OpenCL C
    .language_version:
      - 2
      - 0
    .max_flat_workgroup_size: 44
    .name:           _ZN9rocsparseL22gebsrmvn_mxn_16_kernelILj44ELj11ELj2E21rocsparse_complex_numIdEEEvi20rocsparse_direction_NS_24const_host_device_scalarIT2_EEPKiS8_PKS5_iiSA_S6_PS5_21rocsparse_index_base_b
    .private_segment_fixed_size: 0
    .sgpr_count:     22
    .sgpr_spill_count: 0
    .symbol:         _ZN9rocsparseL22gebsrmvn_mxn_16_kernelILj44ELj11ELj2E21rocsparse_complex_numIdEEEvi20rocsparse_direction_NS_24const_host_device_scalarIT2_EEPKiS8_PKS5_iiSA_S6_PS5_21rocsparse_index_base_b.kd
    .uniform_work_group_size: 1
    .uses_dynamic_stack: false
    .vgpr_count:     28
    .vgpr_spill_count: 0
    .wavefront_size: 64
  - .args:
      - .offset:         0
        .size:           4
        .value_kind:     by_value
      - .offset:         4
        .size:           4
        .value_kind:     by_value
      - .offset:         8
        .size:           16
        .value_kind:     by_value
      - .actual_access:  read_only
        .address_space:  global
        .offset:         24
        .size:           8
        .value_kind:     global_buffer
      - .actual_access:  read_only
        .address_space:  global
        .offset:         32
        .size:           8
        .value_kind:     global_buffer
      - .actual_access:  read_only
        .address_space:  global
        .offset:         40
        .size:           8
        .value_kind:     global_buffer
      - .offset:         48
        .size:           4
        .value_kind:     by_value
      - .offset:         52
        .size:           4
        .value_kind:     by_value
      - .actual_access:  read_only
        .address_space:  global
        .offset:         56
        .size:           8
        .value_kind:     global_buffer
      - .offset:         64
        .size:           16
        .value_kind:     by_value
      - .address_space:  global
        .offset:         80
        .size:           8
        .value_kind:     global_buffer
      - .offset:         88
        .size:           4
        .value_kind:     by_value
      - .offset:         92
        .size:           1
        .value_kind:     by_value
    .group_segment_fixed_size: 528
    .kernarg_segment_align: 8
    .kernarg_segment_size: 96
    .language:       OpenCL C
    .language_version:
      - 2
      - 0
    .max_flat_workgroup_size: 33
    .name:           _ZN9rocsparseL22gebsrmvn_mxn_16_kernelILj33ELj11ELj3E21rocsparse_complex_numIdEEEvi20rocsparse_direction_NS_24const_host_device_scalarIT2_EEPKiS8_PKS5_iiSA_S6_PS5_21rocsparse_index_base_b
    .private_segment_fixed_size: 0
    .sgpr_count:     22
    .sgpr_spill_count: 0
    .symbol:         _ZN9rocsparseL22gebsrmvn_mxn_16_kernelILj33ELj11ELj3E21rocsparse_complex_numIdEEEvi20rocsparse_direction_NS_24const_host_device_scalarIT2_EEPKiS8_PKS5_iiSA_S6_PS5_21rocsparse_index_base_b.kd
    .uniform_work_group_size: 1
    .uses_dynamic_stack: false
    .vgpr_count:     28
    .vgpr_spill_count: 0
    .wavefront_size: 64
  - .args:
      - .offset:         0
        .size:           4
        .value_kind:     by_value
      - .offset:         4
        .size:           4
        .value_kind:     by_value
      - .offset:         8
        .size:           16
        .value_kind:     by_value
      - .actual_access:  read_only
        .address_space:  global
        .offset:         24
        .size:           8
        .value_kind:     global_buffer
      - .actual_access:  read_only
        .address_space:  global
        .offset:         32
        .size:           8
        .value_kind:     global_buffer
      - .actual_access:  read_only
        .address_space:  global
        .offset:         40
        .size:           8
        .value_kind:     global_buffer
      - .offset:         48
        .size:           4
        .value_kind:     by_value
      - .offset:         52
        .size:           4
        .value_kind:     by_value
      - .actual_access:  read_only
        .address_space:  global
        .offset:         56
        .size:           8
        .value_kind:     global_buffer
      - .offset:         64
        .size:           16
        .value_kind:     by_value
      - .address_space:  global
        .offset:         80
        .size:           8
        .value_kind:     global_buffer
      - .offset:         88
        .size:           4
        .value_kind:     by_value
      - .offset:         92
        .size:           1
        .value_kind:     by_value
    .group_segment_fixed_size: 704
    .kernarg_segment_align: 8
    .kernarg_segment_size: 96
    .language:       OpenCL C
    .language_version:
      - 2
      - 0
    .max_flat_workgroup_size: 44
    .name:           _ZN9rocsparseL22gebsrmvn_mxn_16_kernelILj44ELj11ELj4E21rocsparse_complex_numIdEEEvi20rocsparse_direction_NS_24const_host_device_scalarIT2_EEPKiS8_PKS5_iiSA_S6_PS5_21rocsparse_index_base_b
    .private_segment_fixed_size: 0
    .sgpr_count:     22
    .sgpr_spill_count: 0
    .symbol:         _ZN9rocsparseL22gebsrmvn_mxn_16_kernelILj44ELj11ELj4E21rocsparse_complex_numIdEEEvi20rocsparse_direction_NS_24const_host_device_scalarIT2_EEPKiS8_PKS5_iiSA_S6_PS5_21rocsparse_index_base_b.kd
    .uniform_work_group_size: 1
    .uses_dynamic_stack: false
    .vgpr_count:     28
    .vgpr_spill_count: 0
    .wavefront_size: 64
  - .args:
      - .offset:         0
        .size:           4
        .value_kind:     by_value
      - .offset:         4
        .size:           4
        .value_kind:     by_value
      - .offset:         8
        .size:           16
        .value_kind:     by_value
      - .actual_access:  read_only
        .address_space:  global
        .offset:         24
        .size:           8
        .value_kind:     global_buffer
      - .actual_access:  read_only
        .address_space:  global
        .offset:         32
        .size:           8
        .value_kind:     global_buffer
      - .actual_access:  read_only
        .address_space:  global
        .offset:         40
        .size:           8
        .value_kind:     global_buffer
      - .offset:         48
        .size:           4
        .value_kind:     by_value
      - .offset:         52
        .size:           4
        .value_kind:     by_value
      - .actual_access:  read_only
        .address_space:  global
        .offset:         56
        .size:           8
        .value_kind:     global_buffer
      - .offset:         64
        .size:           16
        .value_kind:     by_value
      - .address_space:  global
        .offset:         80
        .size:           8
        .value_kind:     global_buffer
      - .offset:         88
        .size:           4
        .value_kind:     by_value
      - .offset:         92
        .size:           1
        .value_kind:     by_value
    .group_segment_fixed_size: 880
    .kernarg_segment_align: 8
    .kernarg_segment_size: 96
    .language:       OpenCL C
    .language_version:
      - 2
      - 0
    .max_flat_workgroup_size: 55
    .name:           _ZN9rocsparseL22gebsrmvn_mxn_16_kernelILj55ELj11ELj5E21rocsparse_complex_numIdEEEvi20rocsparse_direction_NS_24const_host_device_scalarIT2_EEPKiS8_PKS5_iiSA_S6_PS5_21rocsparse_index_base_b
    .private_segment_fixed_size: 0
    .sgpr_count:     22
    .sgpr_spill_count: 0
    .symbol:         _ZN9rocsparseL22gebsrmvn_mxn_16_kernelILj55ELj11ELj5E21rocsparse_complex_numIdEEEvi20rocsparse_direction_NS_24const_host_device_scalarIT2_EEPKiS8_PKS5_iiSA_S6_PS5_21rocsparse_index_base_b.kd
    .uniform_work_group_size: 1
    .uses_dynamic_stack: false
    .vgpr_count:     28
    .vgpr_spill_count: 0
    .wavefront_size: 64
  - .args:
      - .offset:         0
        .size:           4
        .value_kind:     by_value
      - .offset:         4
        .size:           4
        .value_kind:     by_value
      - .offset:         8
        .size:           16
        .value_kind:     by_value
      - .actual_access:  read_only
        .address_space:  global
        .offset:         24
        .size:           8
        .value_kind:     global_buffer
      - .actual_access:  read_only
        .address_space:  global
        .offset:         32
        .size:           8
        .value_kind:     global_buffer
      - .actual_access:  read_only
        .address_space:  global
        .offset:         40
        .size:           8
        .value_kind:     global_buffer
      - .offset:         48
        .size:           4
        .value_kind:     by_value
      - .offset:         52
        .size:           4
        .value_kind:     by_value
      - .actual_access:  read_only
        .address_space:  global
        .offset:         56
        .size:           8
        .value_kind:     global_buffer
      - .offset:         64
        .size:           16
        .value_kind:     by_value
      - .address_space:  global
        .offset:         80
        .size:           8
        .value_kind:     global_buffer
      - .offset:         88
        .size:           4
        .value_kind:     by_value
      - .offset:         92
        .size:           1
        .value_kind:     by_value
    .group_segment_fixed_size: 1056
    .kernarg_segment_align: 8
    .kernarg_segment_size: 96
    .language:       OpenCL C
    .language_version:
      - 2
      - 0
    .max_flat_workgroup_size: 66
    .name:           _ZN9rocsparseL22gebsrmvn_mxn_16_kernelILj66ELj11ELj6E21rocsparse_complex_numIdEEEvi20rocsparse_direction_NS_24const_host_device_scalarIT2_EEPKiS8_PKS5_iiSA_S6_PS5_21rocsparse_index_base_b
    .private_segment_fixed_size: 0
    .sgpr_count:     22
    .sgpr_spill_count: 0
    .symbol:         _ZN9rocsparseL22gebsrmvn_mxn_16_kernelILj66ELj11ELj6E21rocsparse_complex_numIdEEEvi20rocsparse_direction_NS_24const_host_device_scalarIT2_EEPKiS8_PKS5_iiSA_S6_PS5_21rocsparse_index_base_b.kd
    .uniform_work_group_size: 1
    .uses_dynamic_stack: false
    .vgpr_count:     28
    .vgpr_spill_count: 0
    .wavefront_size: 64
  - .args:
      - .offset:         0
        .size:           4
        .value_kind:     by_value
      - .offset:         4
        .size:           4
        .value_kind:     by_value
      - .offset:         8
        .size:           16
        .value_kind:     by_value
      - .actual_access:  read_only
        .address_space:  global
        .offset:         24
        .size:           8
        .value_kind:     global_buffer
      - .actual_access:  read_only
        .address_space:  global
        .offset:         32
        .size:           8
        .value_kind:     global_buffer
      - .actual_access:  read_only
        .address_space:  global
        .offset:         40
        .size:           8
        .value_kind:     global_buffer
      - .offset:         48
        .size:           4
        .value_kind:     by_value
      - .offset:         52
        .size:           4
        .value_kind:     by_value
      - .actual_access:  read_only
        .address_space:  global
        .offset:         56
        .size:           8
        .value_kind:     global_buffer
      - .offset:         64
        .size:           16
        .value_kind:     by_value
      - .address_space:  global
        .offset:         80
        .size:           8
        .value_kind:     global_buffer
      - .offset:         88
        .size:           4
        .value_kind:     by_value
      - .offset:         92
        .size:           1
        .value_kind:     by_value
    .group_segment_fixed_size: 1232
    .kernarg_segment_align: 8
    .kernarg_segment_size: 96
    .language:       OpenCL C
    .language_version:
      - 2
      - 0
    .max_flat_workgroup_size: 77
    .name:           _ZN9rocsparseL22gebsrmvn_mxn_16_kernelILj77ELj11ELj7E21rocsparse_complex_numIdEEEvi20rocsparse_direction_NS_24const_host_device_scalarIT2_EEPKiS8_PKS5_iiSA_S6_PS5_21rocsparse_index_base_b
    .private_segment_fixed_size: 0
    .sgpr_count:     22
    .sgpr_spill_count: 0
    .symbol:         _ZN9rocsparseL22gebsrmvn_mxn_16_kernelILj77ELj11ELj7E21rocsparse_complex_numIdEEEvi20rocsparse_direction_NS_24const_host_device_scalarIT2_EEPKiS8_PKS5_iiSA_S6_PS5_21rocsparse_index_base_b.kd
    .uniform_work_group_size: 1
    .uses_dynamic_stack: false
    .vgpr_count:     28
    .vgpr_spill_count: 0
    .wavefront_size: 64
  - .args:
      - .offset:         0
        .size:           4
        .value_kind:     by_value
      - .offset:         4
        .size:           4
        .value_kind:     by_value
      - .offset:         8
        .size:           16
        .value_kind:     by_value
      - .actual_access:  read_only
        .address_space:  global
        .offset:         24
        .size:           8
        .value_kind:     global_buffer
      - .actual_access:  read_only
        .address_space:  global
        .offset:         32
        .size:           8
        .value_kind:     global_buffer
      - .actual_access:  read_only
        .address_space:  global
        .offset:         40
        .size:           8
        .value_kind:     global_buffer
      - .offset:         48
        .size:           4
        .value_kind:     by_value
      - .offset:         52
        .size:           4
        .value_kind:     by_value
      - .actual_access:  read_only
        .address_space:  global
        .offset:         56
        .size:           8
        .value_kind:     global_buffer
      - .offset:         64
        .size:           16
        .value_kind:     by_value
      - .address_space:  global
        .offset:         80
        .size:           8
        .value_kind:     global_buffer
      - .offset:         88
        .size:           4
        .value_kind:     by_value
      - .offset:         92
        .size:           1
        .value_kind:     by_value
    .group_segment_fixed_size: 1408
    .kernarg_segment_align: 8
    .kernarg_segment_size: 96
    .language:       OpenCL C
    .language_version:
      - 2
      - 0
    .max_flat_workgroup_size: 88
    .name:           _ZN9rocsparseL22gebsrmvn_mxn_16_kernelILj88ELj11ELj8E21rocsparse_complex_numIdEEEvi20rocsparse_direction_NS_24const_host_device_scalarIT2_EEPKiS8_PKS5_iiSA_S6_PS5_21rocsparse_index_base_b
    .private_segment_fixed_size: 0
    .sgpr_count:     22
    .sgpr_spill_count: 0
    .symbol:         _ZN9rocsparseL22gebsrmvn_mxn_16_kernelILj88ELj11ELj8E21rocsparse_complex_numIdEEEvi20rocsparse_direction_NS_24const_host_device_scalarIT2_EEPKiS8_PKS5_iiSA_S6_PS5_21rocsparse_index_base_b.kd
    .uniform_work_group_size: 1
    .uses_dynamic_stack: false
    .vgpr_count:     28
    .vgpr_spill_count: 0
    .wavefront_size: 64
  - .args:
      - .offset:         0
        .size:           4
        .value_kind:     by_value
      - .offset:         4
        .size:           4
        .value_kind:     by_value
      - .offset:         8
        .size:           16
        .value_kind:     by_value
      - .actual_access:  read_only
        .address_space:  global
        .offset:         24
        .size:           8
        .value_kind:     global_buffer
      - .actual_access:  read_only
        .address_space:  global
        .offset:         32
        .size:           8
        .value_kind:     global_buffer
      - .actual_access:  read_only
        .address_space:  global
        .offset:         40
        .size:           8
        .value_kind:     global_buffer
      - .offset:         48
        .size:           4
        .value_kind:     by_value
      - .offset:         52
        .size:           4
        .value_kind:     by_value
      - .actual_access:  read_only
        .address_space:  global
        .offset:         56
        .size:           8
        .value_kind:     global_buffer
      - .offset:         64
        .size:           16
        .value_kind:     by_value
      - .address_space:  global
        .offset:         80
        .size:           8
        .value_kind:     global_buffer
      - .offset:         88
        .size:           4
        .value_kind:     by_value
      - .offset:         92
        .size:           1
        .value_kind:     by_value
    .group_segment_fixed_size: 960
    .kernarg_segment_align: 8
    .kernarg_segment_size: 96
    .language:       OpenCL C
    .language_version:
      - 2
      - 0
    .max_flat_workgroup_size: 60
    .name:           _ZN9rocsparseL22gebsrmvn_mxn_16_kernelILj60ELj12ELj1E21rocsparse_complex_numIdEEEvi20rocsparse_direction_NS_24const_host_device_scalarIT2_EEPKiS8_PKS5_iiSA_S6_PS5_21rocsparse_index_base_b
    .private_segment_fixed_size: 0
    .sgpr_count:     20
    .sgpr_spill_count: 0
    .symbol:         _ZN9rocsparseL22gebsrmvn_mxn_16_kernelILj60ELj12ELj1E21rocsparse_complex_numIdEEEvi20rocsparse_direction_NS_24const_host_device_scalarIT2_EEPKiS8_PKS5_iiSA_S6_PS5_21rocsparse_index_base_b.kd
    .uniform_work_group_size: 1
    .uses_dynamic_stack: false
    .vgpr_count:     26
    .vgpr_spill_count: 0
    .wavefront_size: 64
  - .args:
      - .offset:         0
        .size:           4
        .value_kind:     by_value
      - .offset:         4
        .size:           4
        .value_kind:     by_value
      - .offset:         8
        .size:           16
        .value_kind:     by_value
      - .actual_access:  read_only
        .address_space:  global
        .offset:         24
        .size:           8
        .value_kind:     global_buffer
      - .actual_access:  read_only
        .address_space:  global
        .offset:         32
        .size:           8
        .value_kind:     global_buffer
      - .actual_access:  read_only
        .address_space:  global
        .offset:         40
        .size:           8
        .value_kind:     global_buffer
      - .offset:         48
        .size:           4
        .value_kind:     by_value
      - .offset:         52
        .size:           4
        .value_kind:     by_value
      - .actual_access:  read_only
        .address_space:  global
        .offset:         56
        .size:           8
        .value_kind:     global_buffer
      - .offset:         64
        .size:           16
        .value_kind:     by_value
      - .address_space:  global
        .offset:         80
        .size:           8
        .value_kind:     global_buffer
      - .offset:         88
        .size:           4
        .value_kind:     by_value
      - .offset:         92
        .size:           1
        .value_kind:     by_value
    .group_segment_fixed_size: 768
    .kernarg_segment_align: 8
    .kernarg_segment_size: 96
    .language:       OpenCL C
    .language_version:
      - 2
      - 0
    .max_flat_workgroup_size: 48
    .name:           _ZN9rocsparseL22gebsrmvn_mxn_16_kernelILj48ELj12ELj2E21rocsparse_complex_numIdEEEvi20rocsparse_direction_NS_24const_host_device_scalarIT2_EEPKiS8_PKS5_iiSA_S6_PS5_21rocsparse_index_base_b
    .private_segment_fixed_size: 0
    .sgpr_count:     22
    .sgpr_spill_count: 0
    .symbol:         _ZN9rocsparseL22gebsrmvn_mxn_16_kernelILj48ELj12ELj2E21rocsparse_complex_numIdEEEvi20rocsparse_direction_NS_24const_host_device_scalarIT2_EEPKiS8_PKS5_iiSA_S6_PS5_21rocsparse_index_base_b.kd
    .uniform_work_group_size: 1
    .uses_dynamic_stack: false
    .vgpr_count:     28
    .vgpr_spill_count: 0
    .wavefront_size: 64
  - .args:
      - .offset:         0
        .size:           4
        .value_kind:     by_value
      - .offset:         4
        .size:           4
        .value_kind:     by_value
      - .offset:         8
        .size:           16
        .value_kind:     by_value
      - .actual_access:  read_only
        .address_space:  global
        .offset:         24
        .size:           8
        .value_kind:     global_buffer
      - .actual_access:  read_only
        .address_space:  global
        .offset:         32
        .size:           8
        .value_kind:     global_buffer
      - .actual_access:  read_only
        .address_space:  global
        .offset:         40
        .size:           8
        .value_kind:     global_buffer
      - .offset:         48
        .size:           4
        .value_kind:     by_value
      - .offset:         52
        .size:           4
        .value_kind:     by_value
      - .actual_access:  read_only
        .address_space:  global
        .offset:         56
        .size:           8
        .value_kind:     global_buffer
      - .offset:         64
        .size:           16
        .value_kind:     by_value
      - .address_space:  global
        .offset:         80
        .size:           8
        .value_kind:     global_buffer
      - .offset:         88
        .size:           4
        .value_kind:     by_value
      - .offset:         92
        .size:           1
        .value_kind:     by_value
    .group_segment_fixed_size: 576
    .kernarg_segment_align: 8
    .kernarg_segment_size: 96
    .language:       OpenCL C
    .language_version:
      - 2
      - 0
    .max_flat_workgroup_size: 48
    .name:           _ZN9rocsparseL22gebsrmvn_mxn_16_kernelILj48ELj12ELj3E21rocsparse_complex_numIdEEEvi20rocsparse_direction_NS_24const_host_device_scalarIT2_EEPKiS8_PKS5_iiSA_S6_PS5_21rocsparse_index_base_b
    .private_segment_fixed_size: 0
    .sgpr_count:     22
    .sgpr_spill_count: 0
    .symbol:         _ZN9rocsparseL22gebsrmvn_mxn_16_kernelILj48ELj12ELj3E21rocsparse_complex_numIdEEEvi20rocsparse_direction_NS_24const_host_device_scalarIT2_EEPKiS8_PKS5_iiSA_S6_PS5_21rocsparse_index_base_b.kd
    .uniform_work_group_size: 1
    .uses_dynamic_stack: false
    .vgpr_count:     28
    .vgpr_spill_count: 0
    .wavefront_size: 64
  - .args:
      - .offset:         0
        .size:           4
        .value_kind:     by_value
      - .offset:         4
        .size:           4
        .value_kind:     by_value
      - .offset:         8
        .size:           16
        .value_kind:     by_value
      - .actual_access:  read_only
        .address_space:  global
        .offset:         24
        .size:           8
        .value_kind:     global_buffer
      - .actual_access:  read_only
        .address_space:  global
        .offset:         32
        .size:           8
        .value_kind:     global_buffer
      - .actual_access:  read_only
        .address_space:  global
        .offset:         40
        .size:           8
        .value_kind:     global_buffer
      - .offset:         48
        .size:           4
        .value_kind:     by_value
      - .offset:         52
        .size:           4
        .value_kind:     by_value
      - .actual_access:  read_only
        .address_space:  global
        .offset:         56
        .size:           8
        .value_kind:     global_buffer
      - .offset:         64
        .size:           16
        .value_kind:     by_value
      - .address_space:  global
        .offset:         80
        .size:           8
        .value_kind:     global_buffer
      - .offset:         88
        .size:           4
        .value_kind:     by_value
      - .offset:         92
        .size:           1
        .value_kind:     by_value
    .group_segment_fixed_size: 768
    .kernarg_segment_align: 8
    .kernarg_segment_size: 96
    .language:       OpenCL C
    .language_version:
      - 2
      - 0
    .max_flat_workgroup_size: 60
    .name:           _ZN9rocsparseL22gebsrmvn_mxn_16_kernelILj60ELj12ELj4E21rocsparse_complex_numIdEEEvi20rocsparse_direction_NS_24const_host_device_scalarIT2_EEPKiS8_PKS5_iiSA_S6_PS5_21rocsparse_index_base_b
    .private_segment_fixed_size: 0
    .sgpr_count:     22
    .sgpr_spill_count: 0
    .symbol:         _ZN9rocsparseL22gebsrmvn_mxn_16_kernelILj60ELj12ELj4E21rocsparse_complex_numIdEEEvi20rocsparse_direction_NS_24const_host_device_scalarIT2_EEPKiS8_PKS5_iiSA_S6_PS5_21rocsparse_index_base_b.kd
    .uniform_work_group_size: 1
    .uses_dynamic_stack: false
    .vgpr_count:     28
    .vgpr_spill_count: 0
    .wavefront_size: 64
  - .args:
      - .offset:         0
        .size:           4
        .value_kind:     by_value
      - .offset:         4
        .size:           4
        .value_kind:     by_value
      - .offset:         8
        .size:           16
        .value_kind:     by_value
      - .actual_access:  read_only
        .address_space:  global
        .offset:         24
        .size:           8
        .value_kind:     global_buffer
      - .actual_access:  read_only
        .address_space:  global
        .offset:         32
        .size:           8
        .value_kind:     global_buffer
      - .actual_access:  read_only
        .address_space:  global
        .offset:         40
        .size:           8
        .value_kind:     global_buffer
      - .offset:         48
        .size:           4
        .value_kind:     by_value
      - .offset:         52
        .size:           4
        .value_kind:     by_value
      - .actual_access:  read_only
        .address_space:  global
        .offset:         56
        .size:           8
        .value_kind:     global_buffer
      - .offset:         64
        .size:           16
        .value_kind:     by_value
      - .address_space:  global
        .offset:         80
        .size:           8
        .value_kind:     global_buffer
      - .offset:         88
        .size:           4
        .value_kind:     by_value
      - .offset:         92
        .size:           1
        .value_kind:     by_value
    .group_segment_fixed_size: 960
    .kernarg_segment_align: 8
    .kernarg_segment_size: 96
    .language:       OpenCL C
    .language_version:
      - 2
      - 0
    .max_flat_workgroup_size: 60
    .name:           _ZN9rocsparseL22gebsrmvn_mxn_16_kernelILj60ELj12ELj5E21rocsparse_complex_numIdEEEvi20rocsparse_direction_NS_24const_host_device_scalarIT2_EEPKiS8_PKS5_iiSA_S6_PS5_21rocsparse_index_base_b
    .private_segment_fixed_size: 0
    .sgpr_count:     22
    .sgpr_spill_count: 0
    .symbol:         _ZN9rocsparseL22gebsrmvn_mxn_16_kernelILj60ELj12ELj5E21rocsparse_complex_numIdEEEvi20rocsparse_direction_NS_24const_host_device_scalarIT2_EEPKiS8_PKS5_iiSA_S6_PS5_21rocsparse_index_base_b.kd
    .uniform_work_group_size: 1
    .uses_dynamic_stack: false
    .vgpr_count:     28
    .vgpr_spill_count: 0
    .wavefront_size: 64
  - .args:
      - .offset:         0
        .size:           4
        .value_kind:     by_value
      - .offset:         4
        .size:           4
        .value_kind:     by_value
      - .offset:         8
        .size:           16
        .value_kind:     by_value
      - .actual_access:  read_only
        .address_space:  global
        .offset:         24
        .size:           8
        .value_kind:     global_buffer
      - .actual_access:  read_only
        .address_space:  global
        .offset:         32
        .size:           8
        .value_kind:     global_buffer
      - .actual_access:  read_only
        .address_space:  global
        .offset:         40
        .size:           8
        .value_kind:     global_buffer
      - .offset:         48
        .size:           4
        .value_kind:     by_value
      - .offset:         52
        .size:           4
        .value_kind:     by_value
      - .actual_access:  read_only
        .address_space:  global
        .offset:         56
        .size:           8
        .value_kind:     global_buffer
      - .offset:         64
        .size:           16
        .value_kind:     by_value
      - .address_space:  global
        .offset:         80
        .size:           8
        .value_kind:     global_buffer
      - .offset:         88
        .size:           4
        .value_kind:     by_value
      - .offset:         92
        .size:           1
        .value_kind:     by_value
    .group_segment_fixed_size: 1152
    .kernarg_segment_align: 8
    .kernarg_segment_size: 96
    .language:       OpenCL C
    .language_version:
      - 2
      - 0
    .max_flat_workgroup_size: 72
    .name:           _ZN9rocsparseL22gebsrmvn_mxn_16_kernelILj72ELj12ELj6E21rocsparse_complex_numIdEEEvi20rocsparse_direction_NS_24const_host_device_scalarIT2_EEPKiS8_PKS5_iiSA_S6_PS5_21rocsparse_index_base_b
    .private_segment_fixed_size: 0
    .sgpr_count:     22
    .sgpr_spill_count: 0
    .symbol:         _ZN9rocsparseL22gebsrmvn_mxn_16_kernelILj72ELj12ELj6E21rocsparse_complex_numIdEEEvi20rocsparse_direction_NS_24const_host_device_scalarIT2_EEPKiS8_PKS5_iiSA_S6_PS5_21rocsparse_index_base_b.kd
    .uniform_work_group_size: 1
    .uses_dynamic_stack: false
    .vgpr_count:     28
    .vgpr_spill_count: 0
    .wavefront_size: 64
  - .args:
      - .offset:         0
        .size:           4
        .value_kind:     by_value
      - .offset:         4
        .size:           4
        .value_kind:     by_value
      - .offset:         8
        .size:           16
        .value_kind:     by_value
      - .actual_access:  read_only
        .address_space:  global
        .offset:         24
        .size:           8
        .value_kind:     global_buffer
      - .actual_access:  read_only
        .address_space:  global
        .offset:         32
        .size:           8
        .value_kind:     global_buffer
      - .actual_access:  read_only
        .address_space:  global
        .offset:         40
        .size:           8
        .value_kind:     global_buffer
      - .offset:         48
        .size:           4
        .value_kind:     by_value
      - .offset:         52
        .size:           4
        .value_kind:     by_value
      - .actual_access:  read_only
        .address_space:  global
        .offset:         56
        .size:           8
        .value_kind:     global_buffer
      - .offset:         64
        .size:           16
        .value_kind:     by_value
      - .address_space:  global
        .offset:         80
        .size:           8
        .value_kind:     global_buffer
      - .offset:         88
        .size:           4
        .value_kind:     by_value
      - .offset:         92
        .size:           1
        .value_kind:     by_value
    .group_segment_fixed_size: 1344
    .kernarg_segment_align: 8
    .kernarg_segment_size: 96
    .language:       OpenCL C
    .language_version:
      - 2
      - 0
    .max_flat_workgroup_size: 84
    .name:           _ZN9rocsparseL22gebsrmvn_mxn_16_kernelILj84ELj12ELj7E21rocsparse_complex_numIdEEEvi20rocsparse_direction_NS_24const_host_device_scalarIT2_EEPKiS8_PKS5_iiSA_S6_PS5_21rocsparse_index_base_b
    .private_segment_fixed_size: 0
    .sgpr_count:     22
    .sgpr_spill_count: 0
    .symbol:         _ZN9rocsparseL22gebsrmvn_mxn_16_kernelILj84ELj12ELj7E21rocsparse_complex_numIdEEEvi20rocsparse_direction_NS_24const_host_device_scalarIT2_EEPKiS8_PKS5_iiSA_S6_PS5_21rocsparse_index_base_b.kd
    .uniform_work_group_size: 1
    .uses_dynamic_stack: false
    .vgpr_count:     28
    .vgpr_spill_count: 0
    .wavefront_size: 64
  - .args:
      - .offset:         0
        .size:           4
        .value_kind:     by_value
      - .offset:         4
        .size:           4
        .value_kind:     by_value
      - .offset:         8
        .size:           16
        .value_kind:     by_value
      - .actual_access:  read_only
        .address_space:  global
        .offset:         24
        .size:           8
        .value_kind:     global_buffer
      - .actual_access:  read_only
        .address_space:  global
        .offset:         32
        .size:           8
        .value_kind:     global_buffer
      - .actual_access:  read_only
        .address_space:  global
        .offset:         40
        .size:           8
        .value_kind:     global_buffer
      - .offset:         48
        .size:           4
        .value_kind:     by_value
      - .offset:         52
        .size:           4
        .value_kind:     by_value
      - .actual_access:  read_only
        .address_space:  global
        .offset:         56
        .size:           8
        .value_kind:     global_buffer
      - .offset:         64
        .size:           16
        .value_kind:     by_value
      - .address_space:  global
        .offset:         80
        .size:           8
        .value_kind:     global_buffer
      - .offset:         88
        .size:           4
        .value_kind:     by_value
      - .offset:         92
        .size:           1
        .value_kind:     by_value
    .group_segment_fixed_size: 1536
    .kernarg_segment_align: 8
    .kernarg_segment_size: 96
    .language:       OpenCL C
    .language_version:
      - 2
      - 0
    .max_flat_workgroup_size: 96
    .name:           _ZN9rocsparseL22gebsrmvn_mxn_16_kernelILj96ELj12ELj8E21rocsparse_complex_numIdEEEvi20rocsparse_direction_NS_24const_host_device_scalarIT2_EEPKiS8_PKS5_iiSA_S6_PS5_21rocsparse_index_base_b
    .private_segment_fixed_size: 0
    .sgpr_count:     22
    .sgpr_spill_count: 0
    .symbol:         _ZN9rocsparseL22gebsrmvn_mxn_16_kernelILj96ELj12ELj8E21rocsparse_complex_numIdEEEvi20rocsparse_direction_NS_24const_host_device_scalarIT2_EEPKiS8_PKS5_iiSA_S6_PS5_21rocsparse_index_base_b.kd
    .uniform_work_group_size: 1
    .uses_dynamic_stack: false
    .vgpr_count:     28
    .vgpr_spill_count: 0
    .wavefront_size: 64
amdhsa.target:   amdgcn-amd-amdhsa--gfx906
amdhsa.version:
  - 1
  - 2
...

	.end_amdgpu_metadata
